;; amdgpu-corpus repo=ROCm/aiter kind=harvested arch=n/a opt=n/a

/root/src/amdgpu-assembly/repos/ROCm__aiter/hsa/gfx950/f4gemm/f4gemm_bf16_per1x32Fp4_BpreShuffle_64x256.co:	file format elf64-amdgpu

Disassembly of section .text:

0000000000002c00 <_ZN5aiter41f4gemm_bf16_per1x32Fp4_BpreShuffle_64x256E>:
	s_and_b32 s1, s1, 0xffff                                   // 000000002C00: 8601FF01 0000FFFF
	s_load_dwordx2 s[4:5], s[0:1], 0x0                         // 000000002C08: C0060100 00000000
	s_load_dwordx2 s[8:9], s[0:1], 0x10                        // 000000002C10: C0060200 00000010
	s_load_dwordx2 s[12:13], s[0:1], 0x20                      // 000000002C18: C0060300 00000020
	s_load_dwordx2 s[16:17], s[0:1], 0x30                      // 000000002C20: C0060400 00000030
	s_load_dword s41, s[0:1], 0x40                             // 000000002C28: C0020A40 00000040
	s_load_dword s42, s[0:1], 0x50                             // 000000002C30: C0020A80 00000050
	s_load_dword s36, s[0:1], 0x80                             // 000000002C38: C0020900 00000080
	s_load_dword s37, s[0:1], 0xa0                             // 000000002C40: C0020940 000000A0
	s_load_dword s38, s[0:1], 0xc0                             // 000000002C48: C0020980 000000C0
	s_load_dword s43, s[0:1], 0xe0                             // 000000002C50: C0020AC0 000000E0
	s_load_dword s44, s[0:1], 0xf0                             // 000000002C58: C0020B00 000000F0
	s_load_dword s45, s[0:1], 0x100                            // 000000002C60: C0020B40 00000100
	s_load_dwordx2 s[20:21], s[0:1], 0x110                     // 000000002C68: C0060500 00000110
	s_load_dwordx2 s[24:25], s[0:1], 0x120                     // 000000002C70: C0060600 00000120
	s_load_dword s39, s[0:1], 0x130                            // 000000002C78: C00209C0 00000130
	s_load_dword s40, s[0:1], 0x150                            // 000000002C80: C0020A00 00000150
	v_lshrrev_b32_e32 v1, 10, v0                               // 000000002C88: 2002008A
	v_lshrrev_b32_e32 v2, 10, v1                               // 000000002C8C: 2004028A
	v_and_b32_e32 v2, 0x3ff, v2                                // 000000002C90: 260404FF 000003FF
	v_and_b32_e32 v1, 0x3ff, v1                                // 000000002C98: 260202FF 000003FF
	v_and_b32_e32 v0, 0x3ff, v0                                // 000000002CA0: 260000FF 000003FF
	v_lshrrev_b32_e32 v3, 6, v0                                // 000000002CA8: 20060086
	v_and_b32_e32 v0, 63, v0                                   // 000000002CAC: 260000BF
	s_mov_b32 s47, s2                                          // 000000002CB0: BEAF0002
	s_mov_b32 s48, s3                                          // 000000002CB4: BEB00003
	v_readfirstlane_b32 s46, v3                                // 000000002CB8: 7E5C0503
	s_waitcnt lgkmcnt(0)                                       // 000000002CBC: BF8CC07F
	s_add_u32 s51, s44, 0xff                                   // 000000002CC0: 8033FF2C 000000FF
	s_lshr_b32 s50, s51, 8                                     // 000000002CC8: 8F328833
	s_mul_i32 s49, s50, s48                                    // 000000002CCC: 92313032
	s_add_i32 s49, s49, s47                                    // 000000002CD0: 81312F31
	s_add_u32 s51, s43, 63                                     // 000000002CD4: 8033BF2B
	s_lshr_b32 s62, s51, 6                                     // 000000002CD8: 8F3E8633
	s_lshl_b32 s62, s62, 5                                     // 000000002CDC: 8E3E853E
	s_mov_b32 s47, 0                                           // 000000002CE0: BEAF0080

0000000000002ce4 <label_0039>:
	s_cmp_lt_i32 s49, s62                                      // 000000002CE4: BF043E31
	s_cbranch_scc1 label_003E                                  // 000000002CE8: BF850003
	s_sub_i32 s49, s49, s62                                    // 000000002CEC: 81B13E31
	s_add_i32 s47, s47, 32                                     // 000000002CF0: 812FA02F
	s_branch label_0039                                        // 000000002CF4: BF82FFFB

0000000000002cf8 <label_003E>:
	s_sub_i32 s50, s50, s47                                    // 000000002CF8: 81B22F32
	s_cmp_lt_i32 s50, 32                                       // 000000002CFC: BF04A032
	s_cbranch_scc1 label_0044                                  // 000000002D00: BF850003
	s_lshr_b32 s48, s49, 5                                     // 000000002D04: 8F308531
	s_and_b32 s62, s49, 31                                     // 000000002D08: 863E9F31
	s_branch label_0064                                        // 000000002D0C: BF820020

0000000000002d10 <label_0044>:
	v_cvt_f32_u32_e32 v4, s50                                  // 000000002D10: 7E080C32
	s_sub_i32 s48, 0, s50                                      // 000000002D14: 81B03280
	v_rcp_iflag_f32_e32 v4, v4                                 // 000000002D18: 7E084704
	s_nop 0                                                    // 000000002D1C: BF800000
	v_mul_f32_e32 v4, 0x4f7ffffe, v4                           // 000000002D20: 0A0808FF 4F7FFFFE
	v_cvt_u32_f32_e32 v4, v4                                   // 000000002D28: 7E080F04
	v_mul_lo_u32 v5, s48, v4                                   // 000000002D2C: D2850005 00020830
	v_mul_hi_u32 v5, v4, v5                                    // 000000002D34: D2860005 00020B04
	v_add_u32_e32 v4, v4, v5                                   // 000000002D3C: 68080B04
	v_mul_hi_u32 v4, s49, v4                                   // 000000002D40: D2860004 00020831
	v_mul_lo_u32 v5, v4, s50                                   // 000000002D48: D2850005 00006504
	v_sub_u32_e32 v7, s49, v5                                  // 000000002D50: 6A0E0A31
	v_add_u32_e32 v6, 1, v4                                    // 000000002D54: 680C0881
	v_cmp_le_u32_e32 vcc, s50, v7                              // 000000002D58: 7D960E32
	v_subrev_u32_e32 v5, s50, v7                               // 000000002D5C: 6C0A0E32
	s_nop 0                                                    // 000000002D60: BF800000
	v_cndmask_b32_e32 v4, v4, v6, vcc                          // 000000002D64: 00080D04
	v_cndmask_b32_e32 v7, v7, v5, vcc                          // 000000002D68: 000E0B07
	v_add_u32_e32 v5, 1, v4                                    // 000000002D6C: 680A0881
	v_cmp_le_u32_e32 vcc, s50, v7                              // 000000002D70: 7D960E32
	s_nop 1                                                    // 000000002D74: BF800001
	v_cndmask_b32_e32 v7, v4, v5, vcc                          // 000000002D78: 000E0B04
	s_nop 3                                                    // 000000002D7C: BF800003
	v_readfirstlane_b32 s48, v7                                // 000000002D80: 7E600507
	s_nop 3                                                    // 000000002D84: BF800003
	s_mul_i32 s62, s50, s48                                    // 000000002D88: 923E3032
	s_sub_i32 s62, s49, s62                                    // 000000002D8C: 81BE3E31

0000000000002d90 <label_0064>:
	s_add_i32 s47, s62, s47                                    // 000000002D90: 812F2F3E
	s_lshr_b32 s37, s37, 1                                     // 000000002D94: 8F258125
	s_mul_i32 s62, s48, 64                                     // 000000002D98: 923EC030
	s_mul_hi_u32 s63, s37, s62                                 // 000000002D9C: 963F3E25
	s_add_u32 s13, s13, s63                                    // 000000002DA0: 800D3F0D
	s_mul_i32 s63, s37, s62                                    // 000000002DA4: 923F3E25
	s_add_u32 s12, s12, s63                                    // 000000002DA8: 800C3F0C
	s_addc_u32 s13, s13, 0                                     // 000000002DAC: 820D800D
	s_sub_i32 s63, s43, s62                                    // 000000002DB0: 81BF3E2B
	s_cmp_lt_u32 s63, 64                                       // 000000002DB4: BF0AC03F
	s_cselect_b32 s62, s63, 64                                 // 000000002DB8: 853EC03F
	s_mul_i32 s14, s37, s62                                    // 000000002DBC: 920E3E25
	s_mov_b32 s15, 0x20000                                     // 000000002DC0: BE8F00FF 00020000
	v_lshrrev_b32_e32 v4, 3, v0                                // 000000002DC8: 20080083
	v_lshrrev_b32_e32 v5, 2, v4                                // 000000002DCC: 200A0882
	v_lshlrev_b32_e32 v5, 4, v5                                // 000000002DD0: 240A0A84
	v_and_b32_e32 v4, 3, v4                                    // 000000002DD4: 26080883
	v_lshrrev_b32_e32 v6, 1, v4                                // 000000002DD8: 200C0881
	v_lshlrev_b32_e32 v6, 2, v6                                // 000000002DDC: 240C0C82
	v_add_u32_e32 v5, v5, v6                                   // 000000002DE0: 680A0D05
	v_and_b32_e32 v4, 1, v4                                    // 000000002DE4: 26080881
	v_add_u32_e32 v5, v5, v4                                   // 000000002DE8: 680A0905
	v_mul_lo_u32 v144, s37, v5                                 // 000000002DEC: D2850090 00020A25
	v_and_b32_e32 v4, 7, v0                                    // 000000002DF4: 26080087
	v_lshlrev_b32_e32 v4, 4, v4                                // 000000002DF8: 24080884
	v_add_u32_e32 v144, v4, v144                               // 000000002DFC: 69212104
	s_lshr_b32 s62, s46, 1                                     // 000000002E00: 8F3E812E
	s_mul_i32 s62, s62, 8                                      // 000000002E04: 923E883E
	s_and_b32 s63, s46, 1                                      // 000000002E08: 863F812E
	s_mul_i32 s63, s63, 2                                      // 000000002E0C: 923F823F
	s_add_u32 s62, s62, s63                                    // 000000002E10: 803E3F3E
	s_mul_i32 s62, s37, s62                                    // 000000002E14: 923E3E25
	v_add_u32_e32 v144, s62, v144                              // 000000002E18: 6921203E
	s_mul_i32 s62, s37, 32                                     // 000000002E1C: 923EA025
	v_add_u32_e32 v145, s62, v144                              // 000000002E20: 6923203E
	s_mul_i32 s64, 0x420, s46                                  // 000000002E24: 92402EFF 00000420
	s_add_u32 s64, 0x1000, s64                                 // 000000002E2C: 804040FF 00001000
	v_and_b32_e32 v4, 15, v0                                   // 000000002E34: 2608008F
	v_lshrrev_b32_e32 v5, 3, v4                                // 000000002E38: 200A0883
	v_mul_i32_i24_e32 v5, 2, v5                                // 000000002E3C: 0C0A0A82
	v_and_b32_e32 v4, 3, v0                                    // 000000002E40: 26080083
	v_lshrrev_b32_e32 v6, 1, v4                                // 000000002E44: 200C0881
	v_add_u32_e32 v4, v5, v6                                   // 000000002E48: 68080D05
	v_mul_i32_i24_e32 v146, 0x420, v4                          // 000000002E4C: 0D2408FF 00000420
	v_and_b32_e32 v4, 7, v0                                    // 000000002E54: 26080087
	v_lshrrev_b32_e32 v5, 2, v4                                // 000000002E58: 200A0882
	v_mul_i32_i24_e32 v5, 0x100, v5                            // 000000002E5C: 0C0A0AFF 00000100
	v_add_u32_e32 v146, v5, v146                               // 000000002E64: 69252505
	v_and_b32_e32 v4, 1, v0                                    // 000000002E68: 26080081
	v_mul_i32_i24_e32 v6, 0x80, v4                             // 000000002E6C: 0C0C08FF 00000080
	v_add_u32_e32 v146, v6, v146                               // 000000002E74: 69252506
	v_lshrrev_b32_e32 v4, 4, v0                                // 000000002E78: 20080084
	v_mul_i32_i24_e32 v4, 16, v4                               // 000000002E7C: 0C080890
	v_add_u32_e32 v146, v4, v146                               // 000000002E80: 69252504
	v_add_u32_e32 v146, 0x1000, v146                           // 000000002E84: 692524FF 00001000
	v_add_u32_e32 v147, 0x2100, v146                           // 000000002E8C: 692724FF 00002100
	v_add_u32_e32 v148, 0x2100, v147                           // 000000002E94: 692926FF 00002100
	v_add_u32_e32 v149, 0x2100, v148                           // 000000002E9C: 692B28FF 00002100
	s_mul_i32 s62, s48, 64                                     // 000000002EA4: 923EC030
	s_mul_hi_u32 s63, s39, s62                                 // 000000002EA8: 963F3E27
	s_add_u32 s21, s21, s63                                    // 000000002EAC: 80153F15
	s_mul_i32 s63, s39, s62                                    // 000000002EB0: 923F3E27
	s_add_u32 s20, s20, s63                                    // 000000002EB4: 80143F14
	s_addc_u32 s21, s21, 0                                     // 000000002EB8: 82158015
	s_add_u32 s63, s43, 31                                     // 000000002EBC: 803F9F2B
	s_lshr_b32 s63, s63, 5                                     // 000000002EC0: 8F3F853F
	s_lshl_b32 s63, s63, 5                                     // 000000002EC4: 8E3F853F
	s_sub_i32 s63, s63, s62                                    // 000000002EC8: 81BF3E3F
	s_cmp_lt_u32 s63, 64                                       // 000000002ECC: BF0AC03F
	s_cselect_b32 s62, s63, 64                                 // 000000002ED0: 853EC03F
	s_mul_i32 s22, s39, s62                                    // 000000002ED4: 92163E27
	s_mov_b32 s23, 0x20000                                     // 000000002ED8: BE9700FF 00020000
	v_lshlrev_b32_e32 v150, 2, v0                              // 000000002EE0: 252C0082
	s_mul_i32 s63, s46, 32                                     // 000000002EE4: 923FA02E
	s_mul_i32 s63, s63, s39                                    // 000000002EE8: 923F273F
	v_add_u32_e32 v150, s63, v150                              // 000000002EEC: 692D2C3F
	s_mul_i32 s65, s46, 0x100                                  // 000000002EF0: 9241FF2E 00000100
	s_add_i32 s65, s65, 0                                      // 000000002EF8: 81418041
	v_lshlrev_b32_e32 v151, 2, v0                              // 000000002EFC: 252E0082
	v_add_u32_e32 v151, 0, v151                                // 000000002F00: 692F2E80
	s_lshr_b32 s38, s38, 1                                     // 000000002F04: 8F268126
	s_mul_i32 s62, s47, 0x100                                  // 000000002F08: 923EFF2F 00000100
	s_mul_hi_u32 s63, s38, s62                                 // 000000002F10: 963F3E26
	s_add_u32 s17, s17, s63                                    // 000000002F14: 80113F11
	s_mul_i32 s63, s38, s62                                    // 000000002F18: 923F3E26
	s_add_u32 s16, s16, s63                                    // 000000002F1C: 80103F10
	s_addc_u32 s17, s17, 0                                     // 000000002F20: 82118011
	s_sub_i32 s63, s44, s62                                    // 000000002F24: 81BF3E2C
	s_cmp_lt_u32 s63, 0x100                                    // 000000002F28: BF0AFF3F 00000100
	s_cselect_b32 s62, s63, 0x100                              // 000000002F30: 853EFF3F 00000100
	s_mul_i32 s18, s38, s62                                    // 000000002F38: 92123E26
	s_mov_b32 s19, 0x20000                                     // 000000002F3C: BE9300FF 00020000
	v_lshlrev_b32_e32 v152, 4, v0                              // 000000002F44: 25300084
	s_mul_i32 s63, s46, 64                                     // 000000002F48: 923FC02E
	s_mul_i32 s62, s63, s38                                    // 000000002F4C: 923E263F
	v_add_u32_e32 v152, s62, v152                              // 000000002F50: 6931303E
	s_mul_i32 s62, 16, s38                                     // 000000002F54: 923E2690
	v_add_u32_e32 v153, s62, v152                              // 000000002F58: 6933303E
	v_add_u32_e32 v154, s62, v153                              // 000000002F5C: 6935323E
	v_add_u32_e32 v155, s62, v154                              // 000000002F60: 6937343E
	s_mul_i32 s62, s47, 0x100                                  // 000000002F64: 923EFF2F 00000100
	s_mul_hi_u32 s63, s40, s62                                 // 000000002F6C: 963F3E28
	s_add_u32 s25, s25, s63                                    // 000000002F70: 80193F19
	s_mul_i32 s63, s40, s62                                    // 000000002F74: 923F3E28
	s_add_u32 s24, s24, s63                                    // 000000002F78: 80183F18
	s_addc_u32 s25, s25, 0                                     // 000000002F7C: 82198019
	s_sub_i32 s63, s44, s62                                    // 000000002F80: 81BF3E2C
	s_cmp_lt_u32 s63, 0x100                                    // 000000002F84: BF0AFF3F 00000100
	s_cselect_b32 s62, s63, 0x100                              // 000000002F8C: 853EFF3F 00000100
	s_mul_i32 s26, s40, s62                                    // 000000002F94: 921A3E28
	s_mov_b32 s27, 0x20000                                     // 000000002F98: BE9B00FF 00020000
	v_lshlrev_b32_e32 v156, 2, v0                              // 000000002FA0: 25380082
	s_mul_i32 s63, s46, 64                                     // 000000002FA4: 923FC02E
	s_mul_i32 s63, s63, s40                                    // 000000002FA8: 923F283F
	v_add_u32_e32 v156, s63, v156                              // 000000002FAC: 6939383F
	s_mul_i32 s62, 32, s40                                     // 000000002FB0: 923E28A0
	v_add_u32_e32 v157, s62, v156                              // 000000002FB4: 693B383E
	s_mov_b32 s66, 0x80                                        // 000000002FB8: BEC200FF 00000080
	s_mov_b32 s67, 0x800                                       // 000000002FC0: BEC300FF 00000800
	s_mov_b32 s68, 0x100                                       // 000000002FC8: BEC400FF 00000100
	s_mov_b32 s69, 0x100                                       // 000000002FD0: BEC500FF 00000100
	s_mov_b32 s60, 0                                           // 000000002FD8: BEBC0080
	s_mov_b32 s61, s45                                         // 000000002FDC: BEBD002D
	s_add_u32 m0, 0, s65                                       // 000000002FE0: 807C4180
	buffer_load_dword v150, s[20:23], 0 offen lds              // 000000002FE4: E0511000 80050096
	v_accvgpr_write_b32 a0, 0                                  // 000000002FEC: D3D94000 18000080
	v_accvgpr_write_b32 a1, 0                                  // 000000002FF4: D3D94001 18000080
	v_accvgpr_write_b32 a2, 0                                  // 000000002FFC: D3D94002 18000080
	v_accvgpr_write_b32 a3, 0                                  // 000000003004: D3D94003 18000080
	v_accvgpr_write_b32 a4, 0                                  // 00000000300C: D3D94004 18000080
	v_accvgpr_write_b32 a5, 0                                  // 000000003014: D3D94005 18000080
	s_add_u32 m0, 0, s64                                       // 00000000301C: 807C4080
	buffer_load_dwordx4 v144, s[12:15], 0 offen lds            // 000000003020: E05D1000 80030090
	v_accvgpr_write_b32 a6, 0                                  // 000000003028: D3D94006 18000080
	v_accvgpr_write_b32 a7, 0                                  // 000000003030: D3D94007 18000080
	v_accvgpr_write_b32 a8, 0                                  // 000000003038: D3D94008 18000080
	v_accvgpr_write_b32 a9, 0                                  // 000000003040: D3D94009 18000080
	v_accvgpr_write_b32 a10, 0                                 // 000000003048: D3D9400A 18000080
	v_accvgpr_write_b32 a11, 0                                 // 000000003050: D3D9400B 18000080
	s_add_u32 m0, 0x1080, s64                                  // 000000003058: 807C40FF 00001080
	buffer_load_dwordx4 v145, s[12:15], 0 offen lds            // 000000003060: E05D1000 80030091
	v_accvgpr_write_b32 a12, 0                                 // 000000003068: D3D9400C 18000080
	v_accvgpr_write_b32 a13, 0                                 // 000000003070: D3D9400D 18000080
	v_accvgpr_write_b32 a14, 0                                 // 000000003078: D3D9400E 18000080
	v_accvgpr_write_b32 a15, 0                                 // 000000003080: D3D9400F 18000080
	v_accvgpr_write_b32 a16, 0                                 // 000000003088: D3D94010 18000080
	v_accvgpr_write_b32 a17, 0                                 // 000000003090: D3D94011 18000080
	buffer_load_dwordx4 v[72:75], v152, s[16:19], 0 offen      // 000000003098: E05C1000 80044898
	v_accvgpr_write_b32 a18, 0                                 // 0000000030A0: D3D94012 18000080
	v_accvgpr_write_b32 a19, 0                                 // 0000000030A8: D3D94013 18000080
	v_accvgpr_write_b32 a20, 0                                 // 0000000030B0: D3D94014 18000080
	v_accvgpr_write_b32 a21, 0                                 // 0000000030B8: D3D94015 18000080
	v_accvgpr_write_b32 a22, 0                                 // 0000000030C0: D3D94016 18000080
	v_accvgpr_write_b32 a23, 0                                 // 0000000030C8: D3D94017 18000080
	buffer_load_dwordx4 v[76:79], v153, s[16:19], 0 offen      // 0000000030D0: E05C1000 80044C99
	v_accvgpr_write_b32 a24, 0                                 // 0000000030D8: D3D94018 18000080
	v_accvgpr_write_b32 a25, 0                                 // 0000000030E0: D3D94019 18000080
	v_accvgpr_write_b32 a26, 0                                 // 0000000030E8: D3D9401A 18000080
	v_accvgpr_write_b32 a27, 0                                 // 0000000030F0: D3D9401B 18000080
	v_accvgpr_write_b32 a28, 0                                 // 0000000030F8: D3D9401C 18000080
	v_accvgpr_write_b32 a29, 0                                 // 000000003100: D3D9401D 18000080
	buffer_load_dwordx4 v[80:83], v152, s[16:19], 0 offen offset:1024// 000000003108: E05C1400 80045098
	v_accvgpr_write_b32 a30, 0                                 // 000000003110: D3D9401E 18000080
	v_accvgpr_write_b32 a31, 0                                 // 000000003118: D3D9401F 18000080
	v_accvgpr_write_b32 a32, 0                                 // 000000003120: D3D94020 18000080
	v_accvgpr_write_b32 a33, 0                                 // 000000003128: D3D94021 18000080
	v_accvgpr_write_b32 a34, 0                                 // 000000003130: D3D94022 18000080
	v_accvgpr_write_b32 a35, 0                                 // 000000003138: D3D94023 18000080
	buffer_load_dwordx4 v[84:87], v153, s[16:19], 0 offen offset:1024// 000000003140: E05C1400 80045499
	v_accvgpr_write_b32 a36, 0                                 // 000000003148: D3D94024 18000080
	v_accvgpr_write_b32 a37, 0                                 // 000000003150: D3D94025 18000080
	v_accvgpr_write_b32 a38, 0                                 // 000000003158: D3D94026 18000080
	v_accvgpr_write_b32 a39, 0                                 // 000000003160: D3D94027 18000080
	v_accvgpr_write_b32 a40, 0                                 // 000000003168: D3D94028 18000080
	v_accvgpr_write_b32 a41, 0                                 // 000000003170: D3D94029 18000080
	buffer_load_dword v140, v156, s[24:27], 0 offen            // 000000003178: E0501000 80068C9C
	v_accvgpr_write_b32 a42, 0                                 // 000000003180: D3D9402A 18000080
	v_accvgpr_write_b32 a43, 0                                 // 000000003188: D3D9402B 18000080
	v_accvgpr_write_b32 a44, 0                                 // 000000003190: D3D9402C 18000080
	v_accvgpr_write_b32 a45, 0                                 // 000000003198: D3D9402D 18000080
	v_accvgpr_write_b32 a46, 0                                 // 0000000031A0: D3D9402E 18000080
	v_accvgpr_write_b32 a47, 0                                 // 0000000031A8: D3D9402F 18000080
	s_add_u32 s62, 0x100, s60                                  // 0000000031B0: 803E3CFF 00000100
	s_cmp_lt_u32 s62, s61                                      // 0000000031B8: BF0A3D3E
	s_cselect_b32 s66, s66, 0                                  // 0000000031BC: 85428042
	s_cselect_b32 s68, s68, 0                                  // 0000000031C0: 85448044
	s_add_u32 s12, s12, s66                                    // 0000000031C4: 800C420C
	s_addc_u32 s13, 0, s13                                     // 0000000031C8: 820D0D80
	s_sub_u32 s14, s14, s66                                    // 0000000031CC: 808E420E
	s_add_u32 s20, s20, s68                                    // 0000000031D0: 80144414
	s_addc_u32 s21, 0, s21                                     // 0000000031D4: 82151580
	s_sub_u32 s22, s22, s68                                    // 0000000031D8: 80964416
	buffer_load_dwordx4 v[88:91], v154, s[16:19], 0 offen      // 0000000031DC: E05C1000 8004589A
	v_accvgpr_write_b32 a48, 0                                 // 0000000031E4: D3D94030 18000080
	v_accvgpr_write_b32 a49, 0                                 // 0000000031EC: D3D94031 18000080
	v_accvgpr_write_b32 a50, 0                                 // 0000000031F4: D3D94032 18000080
	v_accvgpr_write_b32 a51, 0                                 // 0000000031FC: D3D94033 18000080
	v_accvgpr_write_b32 a52, 0                                 // 000000003204: D3D94034 18000080
	v_accvgpr_write_b32 a53, 0                                 // 00000000320C: D3D94035 18000080
	buffer_load_dwordx4 v[92:95], v155, s[16:19], 0 offen      // 000000003214: E05C1000 80045C9B
	v_accvgpr_write_b32 a54, 0                                 // 00000000321C: D3D94036 18000080
	v_accvgpr_write_b32 a55, 0                                 // 000000003224: D3D94037 18000080
	v_accvgpr_write_b32 a56, 0                                 // 00000000322C: D3D94038 18000080
	v_accvgpr_write_b32 a57, 0                                 // 000000003234: D3D94039 18000080
	v_accvgpr_write_b32 a58, 0                                 // 00000000323C: D3D9403A 18000080
	v_accvgpr_write_b32 a59, 0                                 // 000000003244: D3D9403B 18000080
	buffer_load_dwordx4 v[96:99], v154, s[16:19], 0 offen offset:1024// 00000000324C: E05C1400 8004609A
	v_accvgpr_write_b32 a60, 0                                 // 000000003254: D3D9403C 18000080
	v_accvgpr_write_b32 a61, 0                                 // 00000000325C: D3D9403D 18000080
	v_accvgpr_write_b32 a62, 0                                 // 000000003264: D3D9403E 18000080
	v_accvgpr_write_b32 a63, 0                                 // 00000000326C: D3D9403F 18000080
	buffer_load_dwordx4 v[100:103], v155, s[16:19], 0 offen offset:1024// 000000003274: E05C1400 8004649B
	buffer_load_dword v141, v157, s[24:27], 0 offen            // 00000000327C: E0501000 80068D9D
	s_add_u32 s63, 0x100, s60                                  // 000000003284: 803F3CFF 00000100
	s_cmp_lt_u32 s63, s61                                      // 00000000328C: BF0A3D3F
	s_cselect_b32 s67, s67, 0                                  // 000000003290: 85438043
	s_cselect_b32 s69, s69, 0                                  // 000000003294: 85458045
	s_add_u32 s16, s16, s67                                    // 000000003298: 80104310
	s_addc_u32 s17, 0, s17                                     // 00000000329C: 82111180
	s_sub_u32 s18, s18, s67                                    // 0000000032A0: 80924312
	s_add_u32 s24, s24, s69                                    // 0000000032A4: 80184518
	s_addc_u32 s25, 0, s25                                     // 0000000032A8: 82191980
	s_sub_u32 s26, s26, s69                                    // 0000000032AC: 809A451A
	s_add_u32 m0, 0x400, s65                                   // 0000000032B0: 807C41FF 00000400
	buffer_load_dword v150, s[20:23], 0 offen lds              // 0000000032B8: E0511000 80050096
	s_add_u32 m0, 0x2100, s64                                  // 0000000032C0: 807C40FF 00002100
	buffer_load_dwordx4 v144, s[12:15], 0 offen lds            // 0000000032C8: E05D1000 80030090
	s_add_u32 m0, 0x3180, s64                                  // 0000000032D0: 807C40FF 00003180
	buffer_load_dwordx4 v145, s[12:15], 0 offen lds            // 0000000032D8: E05D1000 80030091
	buffer_load_dwordx4 v[104:107], v152, s[16:19], 0 offen    // 0000000032E0: E05C1000 80046898
	buffer_load_dwordx4 v[108:111], v153, s[16:19], 0 offen    // 0000000032E8: E05C1000 80046C99
	buffer_load_dwordx4 v[112:115], v152, s[16:19], 0 offen offset:1024// 0000000032F0: E05C1400 80047098
	buffer_load_dwordx4 v[116:119], v153, s[16:19], 0 offen offset:1024// 0000000032F8: E05C1400 80047499
	buffer_load_dword v142, v156, s[24:27], 0 offen            // 000000003300: E0501000 80068E9C
	s_add_u32 s62, 0x200, s60                                  // 000000003308: 803E3CFF 00000200
	s_cmp_lt_u32 s62, s61                                      // 000000003310: BF0A3D3E
	s_cselect_b32 s66, s66, 0                                  // 000000003314: 85428042
	s_cselect_b32 s68, s68, 0                                  // 000000003318: 85448044
	s_add_u32 s12, s12, s66                                    // 00000000331C: 800C420C
	s_addc_u32 s13, 0, s13                                     // 000000003320: 820D0D80
	s_sub_u32 s14, s14, s66                                    // 000000003324: 808E420E
	s_add_u32 s20, s20, s68                                    // 000000003328: 80144414
	s_addc_u32 s21, 0, s21                                     // 00000000332C: 82151580
	s_sub_u32 s22, s22, s68                                    // 000000003330: 80964416
	s_waitcnt vmcnt(18)                                        // 000000003334: BF8C4F72
	s_barrier                                                  // 000000003338: BF8A0000
	ds_read_b128 v[8:11], v146                                 // 00000000333C: D9FE0000 08000092
	ds_read_b128 v[16:19], v146 offset:64                      // 000000003344: D9FE0040 10000092
	ds_read_b128 v[12:15], v146 offset:512                     // 00000000334C: D9FE0200 0C000092
	ds_read_b128 v[20:23], v146 offset:576                     // 000000003354: D9FE0240 14000092
	ds_read_b32 v136, v151                                     // 00000000335C: D86C0000 88000097
	ds_read_b128 v[24:27], v146 offset:4224                    // 000000003364: D9FE1080 18000092
	ds_read_b128 v[32:35], v146 offset:4288                    // 00000000336C: D9FE10C0 20000092
	ds_read_b128 v[28:31], v146 offset:4736                    // 000000003374: D9FE1280 1C000092
	ds_read_b128 v[36:39], v146 offset:4800                    // 00000000337C: D9FE12C0 24000092
	ds_read_b32 v137, v151 offset:256                          // 000000003384: D86C0100 89000097
	s_nop 0                                                    // 00000000338C: BF800000
	s_nop 0                                                    // 000000003390: BF800000
	s_nop 0                                                    // 000000003394: BF800000
	;; [unrolled: 1-line block ×3, first 2 shown]
	s_nop 0                                                    // 00000000339C: BF800000
	s_lshl_b32 s36, s36, 1                                     // 0000000033A0: 8E248124
	s_mul_i32 s62, s48, 64                                     // 0000000033A4: 923EC030
	s_mul_hi_u32 s63, s36, s62                                 // 0000000033A8: 963F3E24
	s_add_u32 s5, s5, s63                                      // 0000000033AC: 80053F05
	s_mul_i32 s63, s36, s62                                    // 0000000033B0: 923F3E24
	s_add_u32 s4, s4, s63                                      // 0000000033B4: 80043F04
	s_addc_u32 s5, s5, 0                                       // 0000000033B8: 82058005
	s_mul_i32 s63, s47, 0x100                                  // 0000000033BC: 923FFF2F 00000100
	s_lshl_b32 s63, s63, 1                                     // 0000000033C4: 8E3F813F
	s_add_u32 s4, s4, s63                                      // 0000000033C8: 80043F04
	s_addc_u32 s5, s5, 0                                       // 0000000033CC: 82058005
	s_sub_i32 s62, s43, s62                                    // 0000000033D0: 81BE3E2B
	s_cmp_lt_u32 s62, 64                                       // 0000000033D4: BF0AC03E
	s_cselect_b32 s62, s62, 64                                 // 0000000033D8: 853EC03E
	s_mul_i32 s62, s36, s62                                    // 0000000033DC: 923E3E24
	s_sub_i32 s6, s62, s63                                     // 0000000033E0: 81863F3E
	s_mov_b32 s7, 0x20000                                      // 0000000033E4: BE8700FF 00020000
	s_mul_i32 s62, s46, 64                                     // 0000000033EC: 923EC02E
	s_lshl_b32 s62, s62, 1                                     // 0000000033F0: 8E3E813E
	v_lshrrev_b32_e32 v4, 5, v0                                // 0000000033F4: 20080085
	v_mul_i32_i24_e32 v4, 16, v4                               // 0000000033F8: 0C080890
	v_lshrrev_b32_e32 v5, 4, v0                                // 0000000033FC: 200A0084
	v_and_b32_e32 v5, 1, v5                                    // 000000003400: 260A0A81
	v_mul_i32_i24_e32 v5, 32, v5                               // 000000003404: 0C0A0AA0
	v_add_u32_e32 v4, v4, v5                                   // 000000003408: 68080B04
	v_and_b32_e32 v5, 15, v0                                   // 00000000340C: 260A008F
	v_mul_lo_u32 v158, s36, v5                                 // 000000003410: D285009E 00020A24
	v_add_u32_e32 v158, s62, v158                              // 000000003418: 693D3C3E
	v_add_u32_e32 v158, v4, v158                               // 00000000341C: 693D3D04
	s_cmp_lt_i32 s46, 2                                        // 000000003420: BF04822E
	s_cbranch_scc0 label_054D                                  // 000000003424: BF840343

0000000000003428 <label_020A>:
	s_waitcnt vmcnt(13) lgkmcnt(5)                             // 000000003428: BF8C057D
	v_mfma_scale_f32_16x16x128_f8f6f4 a[0:3], v[72:75], v[8:11], a[0:3], v140, v136 op_sel_hi:[0,0,0] cbsz:4 blgp:4// 00000000342C: D3AC6000 0003118C D3AD8C00 84021148
	s_add_u32 s63, 0x200, s60                                  // 00000000343C: 803F3CFF 00000200
	s_cmp_lt_u32 s63, s61                                      // 000000003444: BF0A3D3F
	v_mfma_scale_f32_16x16x128_f8f6f4 a[4:7], v[72:75], v[12:15], a[4:7], v140, v136 op_sel_hi:[0,0,0] cbsz:4 blgp:4// 000000003448: D3AC7000 0003118C D3AD8C04 84121948
	s_cselect_b32 s67, s67, 0                                  // 000000003458: 85438043
	buffer_load_dwordx4 v[120:123], v154, s[16:19], 0 offen    // 00000000345C: E05C1000 8004789A
	v_mfma_scale_f32_16x16x128_f8f6f4 a[8:11], v[76:79], v[8:11], a[8:11], v140, v136 op_sel_hi:[0,0,0] cbsz:4 blgp:4// 000000003464: D3AC6800 0003118C D3AD8C08 8422114C
	s_cselect_b32 s69, s69, 0                                  // 000000003474: 85458045
	v_mfma_scale_f32_16x16x128_f8f6f4 a[12:15], v[76:79], v[12:15], a[12:15], v140, v136 op_sel_hi:[0,0,0] cbsz:4 blgp:4// 000000003478: D3AC1800 0003118C D3AD8C0C 8432194C
	buffer_load_dwordx4 v[124:127], v155, s[16:19], 0 offen    // 000000003488: E05C1000 80047C9B
	v_mfma_scale_f32_16x16x128_f8f6f4 a[0:3], v[80:83], v[16:19], a[0:3], v140, v136 op_sel_hi:[0,0,0] cbsz:4 blgp:4// 000000003490: D3AC6000 1803118C D3AD8C00 84022150
	v_mfma_scale_f32_16x16x128_f8f6f4 a[4:7], v[80:83], v[20:23], a[4:7], v140, v136 op_sel_hi:[0,0,0] cbsz:4 blgp:4// 0000000034A0: D3AC7000 1803118C D3AD8C04 84122950
	buffer_load_dwordx4 v[128:131], v154, s[16:19], 0 offen offset:1024// 0000000034B0: E05C1400 8004809A
	v_mfma_scale_f32_16x16x128_f8f6f4 a[8:11], v[84:87], v[16:19], a[8:11], v140, v136 op_sel_hi:[0,0,0] cbsz:4 blgp:4// 0000000034B8: D3AC6800 1803118C D3AD8C08 84222154
	v_mfma_scale_f32_16x16x128_f8f6f4 a[12:15], v[84:87], v[20:23], a[12:15], v140, v136 op_sel_hi:[0,0,0] cbsz:4 blgp:4// 0000000034C8: D3AC7800 1803118C D3AD8C0C 84322954
	buffer_load_dwordx4 v[132:135], v155, s[16:19], 0 offen offset:1024// 0000000034D8: E05C1400 8004849B
	s_waitcnt lgkmcnt(0)                                       // 0000000034E0: BF8CC07F
	v_mfma_scale_f32_16x16x128_f8f6f4 a[32:35], v[72:75], v[24:27], a[32:35], v140, v137 op_sel_hi:[0,0,0] cbsz:4 blgp:4// 0000000034E4: D3AC6000 0003138C D3AD8C20 84823148
	v_mfma_scale_f32_16x16x128_f8f6f4 a[36:39], v[72:75], v[28:31], a[36:39], v140, v137 op_sel_hi:[0,0,0] cbsz:4 blgp:4// 0000000034F4: D3AC7000 0003138C D3AD8C24 84923948
	buffer_load_dword v143, v157, s[24:27], 0 offen            // 000000003504: E0501000 80068F9D
	v_mfma_scale_f32_16x16x128_f8f6f4 a[40:43], v[76:79], v[24:27], a[40:43], v140, v137 op_sel_hi:[0,0,0] cbsz:4 blgp:4// 00000000350C: D3AC6800 0003138C D3AD8C28 84A2314C
	s_add_u32 s16, s16, s67                                    // 00000000351C: 80104310
	s_addc_u32 s17, 0, s17                                     // 000000003520: 82111180
	v_mfma_scale_f32_16x16x128_f8f6f4 a[44:47], v[76:79], v[28:31], a[44:47], v140, v137 op_sel_hi:[0,0,0] cbsz:4 blgp:4// 000000003524: D3AC7800 0003138C D3AD8C2C 84B2394C
	s_sub_u32 s18, s18, s67                                    // 000000003534: 80924312
	s_add_u32 s24, s24, s69                                    // 000000003538: 80184518
	v_mfma_scale_f32_16x16x128_f8f6f4 a[32:35], v[80:83], v[32:35], a[32:35], v140, v137 op_sel_hi:[0,0,0] cbsz:4 blgp:4// 00000000353C: D3AC6000 1803138C D3AD8C20 84824150
	s_addc_u32 s25, 0, s25                                     // 00000000354C: 82191980
	s_sub_u32 s26, s26, s69                                    // 000000003550: 809A451A
	v_mfma_scale_f32_16x16x128_f8f6f4 a[36:39], v[80:83], v[36:39], a[36:39], v140, v137 op_sel_hi:[0,0,0] cbsz:4 blgp:4// 000000003554: D3AC7000 1803138C D3AD8C24 84924950
	s_add_u32 m0, 0x800, s65                                   // 000000003564: 807C41FF 00000800
	buffer_load_dword v150, s[20:23], 0 offen lds              // 00000000356C: E0511000 80050096
	v_mfma_scale_f32_16x16x128_f8f6f4 a[40:43], v[84:87], v[32:35], a[40:43], v140, v137 op_sel_hi:[0,0,0] cbsz:4 blgp:4// 000000003574: D3AC6800 1803138C D3AD8C28 84A24154
	v_mfma_scale_f32_16x16x128_f8f6f4 a[44:47], v[84:87], v[36:39], a[44:47], v140, v137 op_sel_hi:[0,0,0] cbsz:4 blgp:4// 000000003584: D3AC7800 1803138C D3AD8C2C 84B24954
	s_waitcnt vmcnt(11)                                        // 000000003594: BF8C0F7B
	s_barrier                                                  // 000000003598: BF8A0000
	v_mfma_scale_f32_16x16x128_f8f6f4 a[16:19], v[88:91], v[8:11], a[16:19], v141, v136 op_sel_hi:[0,0,0] cbsz:4 blgp:4// 00000000359C: D3AC6000 0003118D D3AD8C10 84421158
	ds_read_b128 v[40:43], v147                                // 0000000035AC: D9FE0000 28000093
	v_mfma_scale_f32_16x16x128_f8f6f4 a[20:23], v[88:91], v[12:15], a[20:23], v141, v136 op_sel_hi:[0,0,0] cbsz:4 blgp:4// 0000000035B4: D3AC7000 0003118D D3AD8C14 84521958
	s_add_u32 m0, 0x4200, s64                                  // 0000000035C4: 807C40FF 00004200
	buffer_load_dwordx4 v144, s[12:15], 0 offen lds            // 0000000035CC: E05D1000 80030090
	v_mfma_scale_f32_16x16x128_f8f6f4 a[24:27], v[92:95], v[8:11], a[24:27], v141, v136 op_sel_hi:[0,0,0] cbsz:4 blgp:4// 0000000035D4: D3AC6800 0003118D D3AD8C18 8462115C
	ds_read_b128 v[48:51], v147 offset:64                      // 0000000035E4: D9FE0040 30000093
	v_mfma_scale_f32_16x16x128_f8f6f4 a[28:31], v[92:95], v[12:15], a[28:31], v141, v136 op_sel_hi:[0,0,0] cbsz:4 blgp:4// 0000000035EC: D3AC7800 0003118D D3AD8C1C 8472195C
	s_add_u32 m0, 0x5280, s64                                  // 0000000035FC: 807C40FF 00005280
	buffer_load_dwordx4 v145, s[12:15], 0 offen lds            // 000000003604: E05D1000 80030091
	v_mfma_scale_f32_16x16x128_f8f6f4 a[16:19], v[96:99], v[16:19], a[16:19], v141, v136 op_sel_hi:[0,0,0] cbsz:4 blgp:4// 00000000360C: D3AC6000 1803118D D3AD8C10 84422160
	s_add_u32 s62, 0x300, s60                                  // 00000000361C: 803E3CFF 00000300
	ds_read_b128 v[44:47], v147 offset:512                     // 000000003624: D9FE0200 2C000093
	v_mfma_scale_f32_16x16x128_f8f6f4 a[20:23], v[96:99], v[20:23], a[20:23], v141, v136 op_sel_hi:[0,0,0] cbsz:4 blgp:4// 00000000362C: D3AC7000 1803118D D3AD8C14 84522960
	s_cmp_lt_u32 s62, s61                                      // 00000000363C: BF0A3D3E
	buffer_load_dwordx4 v[72:75], v152, s[16:19], 0 offen      // 000000003640: E05C1000 80044898
	v_mfma_scale_f32_16x16x128_f8f6f4 a[24:27], v[100:103], v[16:19], a[24:27], v141, v136 op_sel_hi:[0,0,0] cbsz:4 blgp:4// 000000003648: D3AC6800 1803118D D3AD8C18 84622164
	s_cselect_b32 s66, s66, 0                                  // 000000003658: 85428042
	ds_read_b128 v[52:55], v147 offset:576                     // 00000000365C: D9FE0240 34000093
	v_mfma_scale_f32_16x16x128_f8f6f4 a[28:31], v[100:103], v[20:23], a[28:31], v141, v136 op_sel_hi:[0,0,0] cbsz:4 blgp:4// 000000003664: D3AC7800 1803118D D3AD8C1C 84722964
	s_cselect_b32 s68, s68, 0                                  // 000000003674: 85448044
	buffer_load_dwordx4 v[76:79], v153, s[16:19], 0 offen      // 000000003678: E05C1000 80044C99
	ds_read_b32 v138, v151 offset:1024                         // 000000003680: D86C0400 8A000097
	v_mfma_scale_f32_16x16x128_f8f6f4 a[48:51], v[88:91], v[24:27], a[48:51], v141, v137 op_sel_hi:[0,0,0] cbsz:4 blgp:4// 000000003688: D3AC6000 0003138D D3AD8C30 84C23158
	s_add_u32 s12, s12, s66                                    // 000000003698: 800C420C
	ds_read_b128 v[56:59], v147 offset:4224                    // 00000000369C: D9FE1080 38000093
	v_mfma_scale_f32_16x16x128_f8f6f4 a[52:55], v[88:91], v[28:31], a[52:55], v141, v137 op_sel_hi:[0,0,0] cbsz:4 blgp:4// 0000000036A4: D3AC7000 0003138D D3AD8C34 84D23958
	s_addc_u32 s13, 0, s13                                     // 0000000036B4: 820D0D80
	buffer_load_dwordx4 v[80:83], v152, s[16:19], 0 offen offset:1024// 0000000036B8: E05C1400 80045098
	v_mfma_scale_f32_16x16x128_f8f6f4 a[56:59], v[92:95], v[24:27], a[56:59], v141, v137 op_sel_hi:[0,0,0] cbsz:4 blgp:4// 0000000036C0: D3AC6800 0003138D D3AD8C38 84E2315C
	s_sub_u32 s14, s14, s66                                    // 0000000036D0: 808E420E
	ds_read_b128 v[64:67], v147 offset:4288                    // 0000000036D4: D9FE10C0 40000093
	v_mfma_scale_f32_16x16x128_f8f6f4 a[60:63], v[92:95], v[28:31], a[60:63], v141, v137 op_sel_hi:[0,0,0] cbsz:4 blgp:4// 0000000036DC: D3AC7800 0003138D D3AD8C3C 84F2395C
	s_add_u32 s20, s20, s68                                    // 0000000036EC: 80144414
	buffer_load_dwordx4 v[84:87], v153, s[16:19], 0 offen offset:1024// 0000000036F0: E05C1400 80045499
	v_mfma_scale_f32_16x16x128_f8f6f4 a[48:51], v[96:99], v[32:35], a[48:51], v141, v137 op_sel_hi:[0,0,0] cbsz:4 blgp:4// 0000000036F8: D3AC6000 1803138D D3AD8C30 84C24160
	s_addc_u32 s21, 0, s21                                     // 000000003708: 82151580
	ds_read_b128 v[60:63], v147 offset:4736                    // 00000000370C: D9FE1280 3C000093
	v_mfma_scale_f32_16x16x128_f8f6f4 a[52:55], v[96:99], v[36:39], a[52:55], v141, v137 op_sel_hi:[0,0,0] cbsz:4 blgp:4// 000000003714: D3AC7000 1803138D D3AD8C34 84D24960
	s_sub_u32 s22, s22, s68                                    // 000000003724: 80964416
	buffer_load_dword v140, v156, s[24:27], 0 offen            // 000000003728: E0501000 80068C9C
	v_mfma_scale_f32_16x16x128_f8f6f4 a[56:59], v[100:103], v[32:35], a[56:59], v141, v137 op_sel_hi:[0,0,0] cbsz:4 blgp:4// 000000003730: D3AC6800 1803138D D3AD8C38 84E24164
	s_addk_i32 s60, 0x100                                      // 000000003740: B73C0100
	ds_read_b128 v[68:71], v147 offset:4800                    // 000000003744: D9FE12C0 44000093
	v_mfma_scale_f32_16x16x128_f8f6f4 a[60:63], v[100:103], v[36:39], a[60:63], v141, v137 op_sel_hi:[0,0,0] cbsz:4 blgp:4// 00000000374C: D3AC7800 1803138D D3AD8C3C 84F24964
	s_cmp_lt_i32 s60, s61                                      // 00000000375C: BF043D3C
	ds_read_b32 v139, v151 offset:1280                         // 000000003760: D86C0500 8B000097
	s_cbranch_scc0 label_0890                                  // 000000003768: BF8405B5
	s_waitcnt vmcnt(13) lgkmcnt(5)                             // 00000000376C: BF8C057D
	v_mfma_scale_f32_16x16x128_f8f6f4 a[0:3], v[104:107], v[40:43], a[0:3], v142, v138 op_sel_hi:[0,0,0] cbsz:4 blgp:4// 000000003770: D3AC6000 0003158E D3AD8C00 84025168
	s_add_u32 s63, 0x200, s60                                  // 000000003780: 803F3CFF 00000200
	s_cmp_lt_u32 s63, s61                                      // 000000003788: BF0A3D3F
	v_mfma_scale_f32_16x16x128_f8f6f4 a[4:7], v[104:107], v[44:47], a[4:7], v142, v138 op_sel_hi:[0,0,0] cbsz:4 blgp:4// 00000000378C: D3AC7000 0003158E D3AD8C04 84125968
	s_cselect_b32 s67, s67, 0                                  // 00000000379C: 85438043
	buffer_load_dwordx4 v[88:91], v154, s[16:19], 0 offen      // 0000000037A0: E05C1000 8004589A
	v_mfma_scale_f32_16x16x128_f8f6f4 a[8:11], v[108:111], v[40:43], a[8:11], v142, v138 op_sel_hi:[0,0,0] cbsz:4 blgp:4// 0000000037A8: D3AC6800 0003158E D3AD8C08 8422516C
	s_cselect_b32 s69, s69, 0                                  // 0000000037B8: 85458045
	v_mfma_scale_f32_16x16x128_f8f6f4 a[12:15], v[108:111], v[44:47], a[12:15], v142, v138 op_sel_hi:[0,0,0] cbsz:4 blgp:4// 0000000037BC: D3AC7800 0003158E D3AD8C0C 8432596C
	buffer_load_dwordx4 v[92:95], v155, s[16:19], 0 offen      // 0000000037CC: E05C1000 80045C9B
	v_mfma_scale_f32_16x16x128_f8f6f4 a[0:3], v[112:115], v[48:51], a[0:3], v142, v138 op_sel_hi:[0,0,0] cbsz:4 blgp:4// 0000000037D4: D3AC6000 1803158E D3AD8C00 84026170
	v_mfma_scale_f32_16x16x128_f8f6f4 a[4:7], v[112:115], v[52:55], a[4:7], v142, v138 op_sel_hi:[0,0,0] cbsz:4 blgp:4// 0000000037E4: D3AC7000 1803158E D3AD8C04 84126970
	buffer_load_dwordx4 v[96:99], v154, s[16:19], 0 offen offset:1024// 0000000037F4: E05C1400 8004609A
	v_mfma_scale_f32_16x16x128_f8f6f4 a[8:11], v[116:119], v[48:51], a[8:11], v142, v138 op_sel_hi:[0,0,0] cbsz:4 blgp:4// 0000000037FC: D3AC6800 1803158E D3AD8C08 84226174
	v_mfma_scale_f32_16x16x128_f8f6f4 a[12:15], v[116:119], v[52:55], a[12:15], v142, v138 op_sel_hi:[0,0,0] cbsz:4 blgp:4// 00000000380C: D3AC7800 1803158E D3AD8C0C 84326974
	buffer_load_dwordx4 v[100:103], v155, s[16:19], 0 offen offset:1024// 00000000381C: E05C1400 8004649B
	s_waitcnt lgkmcnt(0)                                       // 000000003824: BF8CC07F
	v_mfma_scale_f32_16x16x128_f8f6f4 a[32:35], v[104:107], v[56:59], a[32:35], v142, v139 op_sel_hi:[0,0,0] cbsz:4 blgp:4// 000000003828: D3AC6000 0003178E D3AD8C20 84827168
	v_mfma_scale_f32_16x16x128_f8f6f4 a[36:39], v[104:107], v[60:63], a[36:39], v142, v139 op_sel_hi:[0,0,0] cbsz:4 blgp:4// 000000003838: D3AC7000 0003178E D3AD8C24 84927968
	buffer_load_dword v141, v157, s[24:27], 0 offen            // 000000003848: E0501000 80068D9D
	v_mfma_scale_f32_16x16x128_f8f6f4 a[40:43], v[108:111], v[56:59], a[40:43], v142, v139 op_sel_hi:[0,0,0] cbsz:4 blgp:4// 000000003850: D3AC6800 0003178E D3AD8C28 84A2716C
	s_add_u32 s16, s16, s67                                    // 000000003860: 80104310
	s_addc_u32 s17, 0, s17                                     // 000000003864: 82111180
	v_mfma_scale_f32_16x16x128_f8f6f4 a[44:47], v[108:111], v[60:63], a[44:47], v142, v139 op_sel_hi:[0,0,0] cbsz:4 blgp:4// 000000003868: D3AC7800 0003178E D3AD8C2C 84B2796C
	s_sub_u32 s18, s18, s67                                    // 000000003878: 80924312
	s_add_u32 s24, s24, s69                                    // 00000000387C: 80184518
	v_mfma_scale_f32_16x16x128_f8f6f4 a[32:35], v[112:115], v[64:67], a[32:35], v142, v139 op_sel_hi:[0,0,0] cbsz:4 blgp:4// 000000003880: D3AC6000 1803178E D3AD8C20 84828170
	s_addc_u32 s25, 0, s25                                     // 000000003890: 82191980
	s_sub_u32 s26, s26, s69                                    // 000000003894: 809A451A
	v_mfma_scale_f32_16x16x128_f8f6f4 a[36:39], v[112:115], v[68:71], a[36:39], v142, v139 op_sel_hi:[0,0,0] cbsz:4 blgp:4// 000000003898: D3AC7000 1803178E D3AD8C24 84928970
	s_add_u32 m0, 0xc00, s65                                   // 0000000038A8: 807C41FF 00000C00
	buffer_load_dword v150, s[20:23], 0 offen lds              // 0000000038B0: E0511000 80050096
	v_mfma_scale_f32_16x16x128_f8f6f4 a[40:43], v[116:119], v[64:67], a[40:43], v142, v139 op_sel_hi:[0,0,0] cbsz:4 blgp:4// 0000000038B8: D3AC6800 1803178E D3AD8C28 84A28174
	v_mfma_scale_f32_16x16x128_f8f6f4 a[44:47], v[116:119], v[68:71], a[44:47], v142, v139 op_sel_hi:[0,0,0] cbsz:4 blgp:4// 0000000038C8: D3AC7800 1803178E D3AD8C2C 84B28974
	s_waitcnt vmcnt(11)                                        // 0000000038D8: BF8C0F7B
	s_barrier                                                  // 0000000038DC: BF8A0000
	v_mfma_scale_f32_16x16x128_f8f6f4 a[16:19], v[120:123], v[40:43], a[16:19], v143, v138 op_sel_hi:[0,0,0] cbsz:4 blgp:4// 0000000038E0: D3AC6000 0003158F D3AD8C10 84425178
	ds_read_b128 v[8:11], v148                                 // 0000000038F0: D9FE0000 08000094
	v_mfma_scale_f32_16x16x128_f8f6f4 a[20:23], v[120:123], v[44:47], a[20:23], v143, v138 op_sel_hi:[0,0,0] cbsz:4 blgp:4// 0000000038F8: D3AC7000 0003158F D3AD8C14 84525978
	s_add_u32 m0, 0x6300, s64                                  // 000000003908: 807C40FF 00006300
	buffer_load_dwordx4 v144, s[12:15], 0 offen lds            // 000000003910: E05D1000 80030090
	v_mfma_scale_f32_16x16x128_f8f6f4 a[24:27], v[124:127], v[40:43], a[24:27], v143, v138 op_sel_hi:[0,0,0] cbsz:4 blgp:4// 000000003918: D3AC6800 0003158F D3AD8C18 8462517C
	ds_read_b128 v[16:19], v148 offset:64                      // 000000003928: D9FE0040 10000094
	v_mfma_scale_f32_16x16x128_f8f6f4 a[28:31], v[124:127], v[44:47], a[28:31], v143, v138 op_sel_hi:[0,0,0] cbsz:4 blgp:4// 000000003930: D3AC7800 0003158F D3AD8C1C 8472597C
	s_add_u32 m0, 0x7380, s64                                  // 000000003940: 807C40FF 00007380
	buffer_load_dwordx4 v145, s[12:15], 0 offen lds            // 000000003948: E05D1000 80030091
	v_mfma_scale_f32_16x16x128_f8f6f4 a[16:19], v[128:131], v[48:51], a[16:19], v143, v138 op_sel_hi:[0,0,0] cbsz:4 blgp:4// 000000003950: D3AC6000 1803158F D3AD8C10 84426180
	s_add_u32 s62, 0x300, s60                                  // 000000003960: 803E3CFF 00000300
	ds_read_b128 v[12:15], v148 offset:512                     // 000000003968: D9FE0200 0C000094
	v_mfma_scale_f32_16x16x128_f8f6f4 a[20:23], v[128:131], v[52:55], a[20:23], v143, v138 op_sel_hi:[0,0,0] cbsz:4 blgp:4// 000000003970: D3AC7000 1803158F D3AD8C14 84526980
	s_cmp_lt_u32 s62, s61                                      // 000000003980: BF0A3D3E
	buffer_load_dwordx4 v[104:107], v152, s[16:19], 0 offen    // 000000003984: E05C1000 80046898
	v_mfma_scale_f32_16x16x128_f8f6f4 a[24:27], v[132:135], v[48:51], a[24:27], v143, v138 op_sel_hi:[0,0,0] cbsz:4 blgp:4// 00000000398C: D3AC6800 1803158F D3AD8C18 84626184
	s_cselect_b32 s66, s66, 0                                  // 00000000399C: 85428042
	ds_read_b128 v[20:23], v148 offset:576                     // 0000000039A0: D9FE0240 14000094
	v_mfma_scale_f32_16x16x128_f8f6f4 a[28:31], v[132:135], v[52:55], a[28:31], v143, v138 op_sel_hi:[0,0,0] cbsz:4 blgp:4// 0000000039A8: D3AC7800 1803158F D3AD8C1C 84726984
	s_cselect_b32 s68, s68, 0                                  // 0000000039B8: 85448044
	buffer_load_dwordx4 v[108:111], v153, s[16:19], 0 offen    // 0000000039BC: E05C1000 80046C99
	ds_read_b32 v136, v151 offset:2048                         // 0000000039C4: D86C0800 88000097
	v_mfma_scale_f32_16x16x128_f8f6f4 a[48:51], v[120:123], v[56:59], a[48:51], v143, v139 op_sel_hi:[0,0,0] cbsz:4 blgp:4// 0000000039CC: D3AC6000 0003178F D3AD8C30 84C27178
	s_add_u32 s12, s12, s66                                    // 0000000039DC: 800C420C
	ds_read_b128 v[24:27], v148 offset:4224                    // 0000000039E0: D9FE1080 18000094
	v_mfma_scale_f32_16x16x128_f8f6f4 a[52:55], v[120:123], v[60:63], a[52:55], v143, v139 op_sel_hi:[0,0,0] cbsz:4 blgp:4// 0000000039E8: D3AC7000 0003178F D3AD8C34 84D27978
	s_addc_u32 s13, 0, s13                                     // 0000000039F8: 820D0D80
	buffer_load_dwordx4 v[112:115], v152, s[16:19], 0 offen offset:1024// 0000000039FC: E05C1400 80047098
	v_mfma_scale_f32_16x16x128_f8f6f4 a[56:59], v[124:127], v[56:59], a[56:59], v143, v139 op_sel_hi:[0,0,0] cbsz:4 blgp:4// 000000003A04: D3AC6800 0003178F D3AD8C38 84E2717C
	s_sub_u32 s14, s14, s66                                    // 000000003A14: 808E420E
	ds_read_b128 v[32:35], v148 offset:4288                    // 000000003A18: D9FE10C0 20000094
	v_mfma_scale_f32_16x16x128_f8f6f4 a[60:63], v[124:127], v[60:63], a[60:63], v143, v139 op_sel_hi:[0,0,0] cbsz:4 blgp:4// 000000003A20: D3AC7800 0003178F D3AD8C3C 84F2797C
	s_add_u32 s20, s20, s68                                    // 000000003A30: 80144414
	buffer_load_dwordx4 v[116:119], v153, s[16:19], 0 offen offset:1024// 000000003A34: E05C1400 80047499
	v_mfma_scale_f32_16x16x128_f8f6f4 a[48:51], v[128:131], v[64:67], a[48:51], v143, v139 op_sel_hi:[0,0,0] cbsz:4 blgp:4// 000000003A3C: D3AC6000 1803178F D3AD8C30 84C28180
	s_addc_u32 s21, 0, s21                                     // 000000003A4C: 82151580
	ds_read_b128 v[28:31], v148 offset:4736                    // 000000003A50: D9FE1280 1C000094
	v_mfma_scale_f32_16x16x128_f8f6f4 a[52:55], v[128:131], v[68:71], a[52:55], v143, v139 op_sel_hi:[0,0,0] cbsz:4 blgp:4// 000000003A58: D3AC7000 1803178F D3AD8C34 84D28980
	s_sub_u32 s22, s22, s68                                    // 000000003A68: 80964416
	buffer_load_dword v142, v156, s[24:27], 0 offen            // 000000003A6C: E0501000 80068E9C
	v_mfma_scale_f32_16x16x128_f8f6f4 a[56:59], v[132:135], v[64:67], a[56:59], v143, v139 op_sel_hi:[0,0,0] cbsz:4 blgp:4// 000000003A74: D3AC6800 1803178F D3AD8C38 84E28184
	s_addk_i32 s60, 0x100                                      // 000000003A84: B73C0100
	ds_read_b128 v[36:39], v148 offset:4800                    // 000000003A88: D9FE12C0 24000094
	v_mfma_scale_f32_16x16x128_f8f6f4 a[60:63], v[132:135], v[68:71], a[60:63], v143, v139 op_sel_hi:[0,0,0] cbsz:4 blgp:4// 000000003A90: D3AC7800 1803178F D3AD8C3C 84F28984
	s_cmp_lt_i32 s60, s61                                      // 000000003AA0: BF043D3C
	ds_read_b32 v137, v151 offset:2304                         // 000000003AA4: D86C0900 89000097
	s_cbranch_scc0 label_0890                                  // 000000003AAC: BF8404E4
	s_waitcnt vmcnt(13) lgkmcnt(5)                             // 000000003AB0: BF8C057D
	v_mfma_scale_f32_16x16x128_f8f6f4 a[0:3], v[72:75], v[8:11], a[0:3], v140, v136 op_sel_hi:[0,0,0] cbsz:4 blgp:4// 000000003AB4: D3AC6000 0003118C D3AD8C00 84021148
	s_add_u32 s63, 0x200, s60                                  // 000000003AC4: 803F3CFF 00000200
	s_cmp_lt_u32 s63, s61                                      // 000000003ACC: BF0A3D3F
	v_mfma_scale_f32_16x16x128_f8f6f4 a[4:7], v[72:75], v[12:15], a[4:7], v140, v136 op_sel_hi:[0,0,0] cbsz:4 blgp:4// 000000003AD0: D3AC7000 0003118C D3AD8C04 84121948
	s_cselect_b32 s67, s67, 0                                  // 000000003AE0: 85438043
	buffer_load_dwordx4 v[120:123], v154, s[16:19], 0 offen    // 000000003AE4: E05C1000 8004789A
	v_mfma_scale_f32_16x16x128_f8f6f4 a[8:11], v[76:79], v[8:11], a[8:11], v140, v136 op_sel_hi:[0,0,0] cbsz:4 blgp:4// 000000003AEC: D3AC6800 0003118C D3AD8C08 8422114C
	s_cselect_b32 s69, s69, 0                                  // 000000003AFC: 85458045
	v_mfma_scale_f32_16x16x128_f8f6f4 a[12:15], v[76:79], v[12:15], a[12:15], v140, v136 op_sel_hi:[0,0,0] cbsz:4 blgp:4// 000000003B00: D3AC7800 0003118C D3AD8C0C 8432194C
	buffer_load_dwordx4 v[124:127], v155, s[16:19], 0 offen    // 000000003B10: E05C1000 80047C9B
	v_mfma_scale_f32_16x16x128_f8f6f4 a[0:3], v[80:83], v[16:19], a[0:3], v140, v136 op_sel_hi:[0,0,0] cbsz:4 blgp:4// 000000003B18: D3AC6000 1803118C D3AD8C00 84022150
	v_mfma_scale_f32_16x16x128_f8f6f4 a[4:7], v[80:83], v[20:23], a[4:7], v140, v136 op_sel_hi:[0,0,0] cbsz:4 blgp:4// 000000003B28: D3AC7000 1803118C D3AD8C04 84122950
	buffer_load_dwordx4 v[128:131], v154, s[16:19], 0 offen offset:1024// 000000003B38: E05C1400 8004809A
	v_mfma_scale_f32_16x16x128_f8f6f4 a[8:11], v[84:87], v[16:19], a[8:11], v140, v136 op_sel_hi:[0,0,0] cbsz:4 blgp:4// 000000003B40: D3AC6800 1803118C D3AD8C08 84222154
	v_mfma_scale_f32_16x16x128_f8f6f4 a[12:15], v[84:87], v[20:23], a[12:15], v140, v136 op_sel_hi:[0,0,0] cbsz:4 blgp:4// 000000003B50: D3AC7800 1803118C D3AD8C0C 84322954
	buffer_load_dwordx4 v[132:135], v155, s[16:19], 0 offen offset:1024// 000000003B60: E05C1400 8004849B
	s_waitcnt lgkmcnt(0)                                       // 000000003B68: BF8CC07F
	v_mfma_scale_f32_16x16x128_f8f6f4 a[32:35], v[72:75], v[24:27], a[32:35], v140, v137 op_sel_hi:[0,0,0] cbsz:4 blgp:4// 000000003B6C: D3AC6000 0003138C D3AD8C20 84823148
	v_mfma_scale_f32_16x16x128_f8f6f4 a[36:39], v[72:75], v[28:31], a[36:39], v140, v137 op_sel_hi:[0,0,0] cbsz:4 blgp:4// 000000003B7C: D3AC5000 0003138C D3AD8C24 84923948
	buffer_load_dword v143, v157, s[24:27], 0 offen            // 000000003B8C: E0501000 80068F9D
	v_mfma_scale_f32_16x16x128_f8f6f4 a[40:43], v[76:79], v[24:27], a[40:43], v140, v137 op_sel_hi:[0,0,0] cbsz:4 blgp:4// 000000003B94: D3AC6800 0003138C D3AD8C28 84A2314C
	s_add_u32 s16, s16, s67                                    // 000000003BA4: 80104310
	s_addc_u32 s17, 0, s17                                     // 000000003BA8: 82111180
	v_mfma_scale_f32_16x16x128_f8f6f4 a[44:47], v[76:79], v[28:31], a[44:47], v140, v137 op_sel_hi:[0,0,0] cbsz:4 blgp:4// 000000003BAC: D3AC7800 0003138C D3AD8C2C 84B2394C
	s_sub_u32 s18, s18, s67                                    // 000000003BBC: 80924312
	s_add_u32 s24, s24, s69                                    // 000000003BC0: 80184518
	v_mfma_scale_f32_16x16x128_f8f6f4 a[32:35], v[80:83], v[32:35], a[32:35], v140, v137 op_sel_hi:[0,0,0] cbsz:4 blgp:4// 000000003BC4: D3AC6000 1803138C D3AD8C20 84824150
	s_addc_u32 s25, 0, s25                                     // 000000003BD4: 82191980
	s_sub_u32 s26, s26, s69                                    // 000000003BD8: 809A451A
	v_mfma_scale_f32_16x16x128_f8f6f4 a[36:39], v[80:83], v[36:39], a[36:39], v140, v137 op_sel_hi:[0,0,0] cbsz:4 blgp:4// 000000003BDC: D3AC3000 1803138C D3AD8C24 84924950
	s_add_u32 m0, 0, s65                                       // 000000003BEC: 807C4180
	buffer_load_dword v150, s[20:23], 0 offen lds              // 000000003BF0: E0511000 80050096
	v_mfma_scale_f32_16x16x128_f8f6f4 a[40:43], v[84:87], v[32:35], a[40:43], v140, v137 op_sel_hi:[0,0,0] cbsz:4 blgp:4// 000000003BF8: D3AC4800 1803138C D3AD8C28 84A24154
	v_mfma_scale_f32_16x16x128_f8f6f4 a[44:47], v[84:87], v[36:39], a[44:47], v140, v137 op_sel_hi:[0,0,0] cbsz:4 blgp:4// 000000003C08: D3AC5800 1803138C D3AD8C2C 84B24954
	s_waitcnt vmcnt(11)                                        // 000000003C18: BF8C0F7B
	s_barrier                                                  // 000000003C1C: BF8A0000
	v_mfma_scale_f32_16x16x128_f8f6f4 a[16:19], v[88:91], v[8:11], a[16:19], v141, v136 op_sel_hi:[0,0,0] cbsz:4 blgp:4// 000000003C20: D3AC6000 0003118D D3AD8C10 84421158
	ds_read_b128 v[40:43], v149                                // 000000003C30: D9FE0000 28000095
	v_mfma_scale_f32_16x16x128_f8f6f4 a[20:23], v[88:91], v[12:15], a[20:23], v141, v136 op_sel_hi:[0,0,0] cbsz:4 blgp:4// 000000003C38: D3AC7000 0003118D D3AD8C14 84521958
	s_add_u32 m0, 0, s64                                       // 000000003C48: 807C4080
	buffer_load_dwordx4 v144, s[12:15], 0 offen lds            // 000000003C4C: E05D1000 80030090
	v_mfma_scale_f32_16x16x128_f8f6f4 a[24:27], v[92:95], v[8:11], a[24:27], v141, v136 op_sel_hi:[0,0,0] cbsz:4 blgp:4// 000000003C54: D3AC6800 0003118D D3AD8C18 8462115C
	ds_read_b128 v[48:51], v149 offset:64                      // 000000003C64: D9FE0040 30000095
	v_mfma_scale_f32_16x16x128_f8f6f4 a[28:31], v[92:95], v[12:15], a[28:31], v141, v136 op_sel_hi:[0,0,0] cbsz:4 blgp:4// 000000003C6C: D3AC7800 0003118D D3AD8C1C 8472195C
	s_add_u32 m0, 0x1080, s64                                  // 000000003C7C: 807C40FF 00001080
	buffer_load_dwordx4 v145, s[12:15], 0 offen lds            // 000000003C84: E05D1000 80030091
	v_mfma_scale_f32_16x16x128_f8f6f4 a[16:19], v[96:99], v[16:19], a[16:19], v141, v136 op_sel_hi:[0,0,0] cbsz:4 blgp:4// 000000003C8C: D3AC6000 1803118D D3AD8C10 84422160
	s_add_u32 s62, 0x300, s60                                  // 000000003C9C: 803E3CFF 00000300
	ds_read_b128 v[44:47], v149 offset:512                     // 000000003CA4: D9FE0200 2C000095
	v_mfma_scale_f32_16x16x128_f8f6f4 a[20:23], v[96:99], v[20:23], a[20:23], v141, v136 op_sel_hi:[0,0,0] cbsz:4 blgp:4// 000000003CAC: D3AC7000 1803118D D3AD8C14 84522960
	s_cmp_lt_u32 s62, s61                                      // 000000003CBC: BF0A3D3E
	buffer_load_dwordx4 v[72:75], v152, s[16:19], 0 offen      // 000000003CC0: E05C1000 80044898
	v_mfma_scale_f32_16x16x128_f8f6f4 a[24:27], v[100:103], v[16:19], a[24:27], v141, v136 op_sel_hi:[0,0,0] cbsz:4 blgp:4// 000000003CC8: D3AC4800 1803118D D3AD8C18 84622164
	s_cselect_b32 s66, s66, 0                                  // 000000003CD8: 85428042
	ds_read_b128 v[52:55], v149 offset:576                     // 000000003CDC: D9FE0240 34000095
	v_mfma_scale_f32_16x16x128_f8f6f4 a[28:31], v[100:103], v[20:23], a[28:31], v141, v136 op_sel_hi:[0,0,0] cbsz:4 blgp:4// 000000003CE4: D3AC7800 1803118D D3AD8C1C 84722964
	s_cselect_b32 s68, s68, 0                                  // 000000003CF4: 85448044
	buffer_load_dwordx4 v[76:79], v153, s[16:19], 0 offen      // 000000003CF8: E05C1000 80044C99
	ds_read_b32 v138, v151 offset:3072                         // 000000003D00: D86C0C00 8A000097
	v_mfma_scale_f32_16x16x128_f8f6f4 a[48:51], v[88:91], v[24:27], a[48:51], v141, v137 op_sel_hi:[0,0,0] cbsz:4 blgp:4// 000000003D08: D3AC6000 0003138D D3AD8C30 84C23158
	s_add_u32 s12, s12, s66                                    // 000000003D18: 800C420C
	ds_read_b128 v[56:59], v149 offset:4224                    // 000000003D1C: D9FE1080 38000095
	v_mfma_scale_f32_16x16x128_f8f6f4 a[52:55], v[88:91], v[28:31], a[52:55], v141, v137 op_sel_hi:[0,0,0] cbsz:4 blgp:4// 000000003D24: D3AC7000 0003138D D3AD8C34 84D23958
	s_addc_u32 s13, 0, s13                                     // 000000003D34: 820D0D80
	buffer_load_dwordx4 v[80:83], v152, s[16:19], 0 offen offset:1024// 000000003D38: E05C1400 80045098
	v_mfma_scale_f32_16x16x128_f8f6f4 a[56:59], v[92:95], v[24:27], a[56:59], v141, v137 op_sel_hi:[0,0,0] cbsz:4 blgp:4// 000000003D40: D3AC6800 0003138D D3AD8C38 84E2315C
	s_sub_u32 s14, s14, s66                                    // 000000003D50: 808E420E
	ds_read_b128 v[64:67], v149 offset:4288                    // 000000003D54: D9FE10C0 40000095
	v_mfma_scale_f32_16x16x128_f8f6f4 a[60:63], v[92:95], v[28:31], a[60:63], v141, v137 op_sel_hi:[0,0,0] cbsz:4 blgp:4// 000000003D5C: D3AC7800 0003138D D3AD8C3C 84F2395C
	s_add_u32 s20, s20, s68                                    // 000000003D6C: 80144414
	buffer_load_dwordx4 v[84:87], v153, s[16:19], 0 offen offset:1024// 000000003D70: E05C1400 80045499
	v_mfma_scale_f32_16x16x128_f8f6f4 a[48:51], v[96:99], v[32:35], a[48:51], v141, v137 op_sel_hi:[0,0,0] cbsz:4 blgp:4// 000000003D78: D3AC6000 1803138D D3AD8C30 84C24160
	s_addc_u32 s21, 0, s21                                     // 000000003D88: 82151580
	ds_read_b128 v[60:63], v149 offset:4736                    // 000000003D8C: D9FE1280 3C000095
	v_mfma_scale_f32_16x16x128_f8f6f4 a[52:55], v[96:99], v[36:39], a[52:55], v141, v137 op_sel_hi:[0,0,0] cbsz:4 blgp:4// 000000003D94: D3AC7000 1803138D D3AD8C34 84D24960
	s_sub_u32 s22, s22, s68                                    // 000000003DA4: 80964416
	buffer_load_dword v140, v156, s[24:27], 0 offen            // 000000003DA8: E0501000 80068C9C
	v_mfma_scale_f32_16x16x128_f8f6f4 a[56:59], v[100:103], v[32:35], a[56:59], v141, v137 op_sel_hi:[0,0,0] cbsz:4 blgp:4// 000000003DB0: D3AC6800 1803138D D3AD8C38 84E24164
	s_addk_i32 s60, 0x100                                      // 000000003DC0: B73C0100
	ds_read_b128 v[68:71], v149 offset:4800                    // 000000003DC4: D9FE12C0 44000095
	v_mfma_scale_f32_16x16x128_f8f6f4 a[60:63], v[100:103], v[36:39], a[60:63], v141, v137 op_sel_hi:[0,0,0] cbsz:4 blgp:4// 000000003DCC: D3AC7800 1803138D D3AD8C3C 84F24964
	s_cmp_lt_i32 s60, s61                                      // 000000003DDC: BF043D3C
	ds_read_b32 v139, v151 offset:3328                         // 000000003DE0: D86C0D00 8B000097
	s_cbranch_scc0 label_0890                                  // 000000003DE8: BF840415
	s_waitcnt vmcnt(13) lgkmcnt(5)                             // 000000003DEC: BF8C057D
	v_mfma_scale_f32_16x16x128_f8f6f4 a[0:3], v[104:107], v[40:43], a[0:3], v142, v138 op_sel_hi:[0,0,0] cbsz:4 blgp:4// 000000003DF0: D3AC6000 0003158E D3AD8C00 84025168
	s_add_u32 s63, 0x200, s60                                  // 000000003E00: 803F3CFF 00000200
	s_cmp_lt_u32 s63, s61                                      // 000000003E08: BF0A3D3F
	v_mfma_scale_f32_16x16x128_f8f6f4 a[4:7], v[104:107], v[44:47], a[4:7], v142, v138 op_sel_hi:[0,0,0] cbsz:4 blgp:4// 000000003E0C: D3AC7000 0003158E D3AD8C04 84125968
	s_cselect_b32 s67, s67, 0                                  // 000000003E1C: 85438043
	buffer_load_dwordx4 v[88:91], v154, s[16:19], 0 offen      // 000000003E20: E05C1000 8004589A
	v_mfma_scale_f32_16x16x128_f8f6f4 a[8:11], v[108:111], v[40:43], a[8:11], v142, v138 op_sel_hi:[0,0,0] cbsz:4 blgp:4// 000000003E28: D3AC6800 0003158E D3AD8C08 8422516C
	s_cselect_b32 s69, s69, 0                                  // 000000003E38: 85458045
	v_mfma_scale_f32_16x16x128_f8f6f4 a[12:15], v[108:111], v[44:47], a[12:15], v142, v138 op_sel_hi:[0,0,0] cbsz:4 blgp:4// 000000003E3C: D3AC7800 0003158E D3AD8C0C 8432596C
	buffer_load_dwordx4 v[92:95], v155, s[16:19], 0 offen      // 000000003E4C: E05C1000 80045C9B
	v_mfma_scale_f32_16x16x128_f8f6f4 a[0:3], v[112:115], v[48:51], a[0:3], v142, v138 op_sel_hi:[0,0,0] cbsz:4 blgp:4// 000000003E54: D3AC6000 1803158E D3AD8C00 84026170
	v_mfma_scale_f32_16x16x128_f8f6f4 a[4:7], v[112:115], v[52:55], a[4:7], v142, v138 op_sel_hi:[0,0,0] cbsz:4 blgp:4// 000000003E64: D3AC7000 1803158E D3AD8C04 84126970
	buffer_load_dwordx4 v[96:99], v154, s[16:19], 0 offen offset:1024// 000000003E74: E05C1400 8004609A
	v_mfma_scale_f32_16x16x128_f8f6f4 a[8:11], v[116:119], v[48:51], a[8:11], v142, v138 op_sel_hi:[0,0,0] cbsz:4 blgp:4// 000000003E7C: D3AC6800 1803158E D3AD8C08 84226174
	v_mfma_scale_f32_16x16x128_f8f6f4 a[12:15], v[116:119], v[52:55], a[12:15], v142, v138 op_sel_hi:[0,0,0] cbsz:4 blgp:4// 000000003E8C: D3AC7800 1803158E D3AD8C0C 84326974
	buffer_load_dwordx4 v[100:103], v155, s[16:19], 0 offen offset:1024// 000000003E9C: E05C1400 8004649B
	s_waitcnt lgkmcnt(0)                                       // 000000003EA4: BF8CC07F
	v_mfma_scale_f32_16x16x128_f8f6f4 a[32:35], v[104:107], v[56:59], a[32:35], v142, v139 op_sel_hi:[0,0,0] cbsz:4 blgp:4// 000000003EA8: D3AC4000 0003178E D3AD8C20 84827168
	v_mfma_scale_f32_16x16x128_f8f6f4 a[36:39], v[104:107], v[60:63], a[36:39], v142, v139 op_sel_hi:[0,0,0] cbsz:4 blgp:4// 000000003EB8: D3AC7000 0003178E D3AD8C24 84927968
	buffer_load_dword v141, v157, s[24:27], 0 offen            // 000000003EC8: E0501000 80068D9D
	v_mfma_scale_f32_16x16x128_f8f6f4 a[40:43], v[108:111], v[56:59], a[40:43], v142, v139 op_sel_hi:[0,0,0] cbsz:4 blgp:4// 000000003ED0: D3AC6800 0003178E D3AD8C28 84A2716C
	s_add_u32 s16, s16, s67                                    // 000000003EE0: 80104310
	s_addc_u32 s17, 0, s17                                     // 000000003EE4: 82111180
	v_mfma_scale_f32_16x16x128_f8f6f4 a[44:47], v[108:111], v[60:63], a[44:47], v142, v139 op_sel_hi:[0,0,0] cbsz:4 blgp:4// 000000003EE8: D3AC7800 0003178E D3AD8C2C 84B2796C
	s_sub_u32 s18, s18, s67                                    // 000000003EF8: 80924312
	s_add_u32 s24, s24, s69                                    // 000000003EFC: 80184518
	v_mfma_scale_f32_16x16x128_f8f6f4 a[32:35], v[112:115], v[64:67], a[32:35], v142, v139 op_sel_hi:[0,0,0] cbsz:4 blgp:4// 000000003F00: D3AC6000 1803178E D3AD8C20 84828170
	s_addc_u32 s25, 0, s25                                     // 000000003F10: 82191980
	s_sub_u32 s26, s26, s69                                    // 000000003F14: 809A451A
	v_mfma_scale_f32_16x16x128_f8f6f4 a[36:39], v[112:115], v[68:71], a[36:39], v142, v139 op_sel_hi:[0,0,0] cbsz:4 blgp:4// 000000003F18: D3AC7000 1803178E D3AD8C24 84928970
	s_add_u32 m0, 0x400, s65                                   // 000000003F28: 807C41FF 00000400
	buffer_load_dword v150, s[20:23], 0 offen lds              // 000000003F30: E0511000 80050096
	v_mfma_scale_f32_16x16x128_f8f6f4 a[40:43], v[116:119], v[64:67], a[40:43], v142, v139 op_sel_hi:[0,0,0] cbsz:4 blgp:4// 000000003F38: D3AC6800 1803178E D3AD8C28 84A28174
	v_mfma_scale_f32_16x16x128_f8f6f4 a[44:47], v[116:119], v[68:71], a[44:47], v142, v139 op_sel_hi:[0,0,0] cbsz:4 blgp:4// 000000003F48: D3AC7800 1803178E D3AD8C2C 84B28974
	s_waitcnt vmcnt(11)                                        // 000000003F58: BF8C0F7B
	s_barrier                                                  // 000000003F5C: BF8A0000
	v_mfma_scale_f32_16x16x128_f8f6f4 a[16:19], v[120:123], v[40:43], a[16:19], v143, v138 op_sel_hi:[0,0,0] cbsz:4 blgp:4// 000000003F60: D3AC6000 0003158F D3AD8C10 84425178
	ds_read_b128 v[8:11], v146                                 // 000000003F70: D9FE0000 08000092
	v_mfma_scale_f32_16x16x128_f8f6f4 a[20:23], v[120:123], v[44:47], a[20:23], v143, v138 op_sel_hi:[0,0,0] cbsz:4 blgp:4// 000000003F78: D3AC7000 0003158F D3AD8C14 84525978
	s_add_u32 m0, 0x2100, s64                                  // 000000003F88: 807C40FF 00002100
	buffer_load_dwordx4 v144, s[12:15], 0 offen lds            // 000000003F90: E05D1000 80030090
	v_mfma_scale_f32_16x16x128_f8f6f4 a[24:27], v[124:127], v[40:43], a[24:27], v143, v138 op_sel_hi:[0,0,0] cbsz:4 blgp:4// 000000003F98: D3AC6800 0003158F D3AD8C18 8462517C
	ds_read_b128 v[16:19], v146 offset:64                      // 000000003FA8: D9FE0040 10000092
	v_mfma_scale_f32_16x16x128_f8f6f4 a[28:31], v[124:127], v[44:47], a[28:31], v143, v138 op_sel_hi:[0,0,0] cbsz:4 blgp:4// 000000003FB0: D3AC1800 0003158F D3AD8C1C 8472597C
	s_add_u32 m0, 0x3180, s64                                  // 000000003FC0: 807C40FF 00003180
	buffer_load_dwordx4 v145, s[12:15], 0 offen lds            // 000000003FC8: E05D1000 80030091
	v_mfma_scale_f32_16x16x128_f8f6f4 a[16:19], v[128:131], v[48:51], a[16:19], v143, v138 op_sel_hi:[0,0,0] cbsz:4 blgp:4// 000000003FD0: D3AC6000 1803158F D3AD8C10 84426180
	s_add_u32 s62, 0x300, s60                                  // 000000003FE0: 803E3CFF 00000300
	ds_read_b128 v[12:15], v146 offset:512                     // 000000003FE8: D9FE0200 0C000092
	v_mfma_scale_f32_16x16x128_f8f6f4 a[20:23], v[128:131], v[52:55], a[20:23], v143, v138 op_sel_hi:[0,0,0] cbsz:4 blgp:4// 000000003FF0: D3AC5000 1803158F D3AD8C14 84526980
	s_cmp_lt_u32 s62, s61                                      // 000000004000: BF0A3D3E
	buffer_load_dwordx4 v[104:107], v152, s[16:19], 0 offen    // 000000004004: E05C1000 80046898
	v_mfma_scale_f32_16x16x128_f8f6f4 a[24:27], v[132:135], v[48:51], a[24:27], v143, v138 op_sel_hi:[0,0,0] cbsz:4 blgp:4// 00000000400C: D3AC6800 1803158F D3AD8C18 84626184
	s_cselect_b32 s66, s66, 0                                  // 00000000401C: 85428042
	ds_read_b128 v[20:23], v146 offset:576                     // 000000004020: D9FE0240 14000092
	v_mfma_scale_f32_16x16x128_f8f6f4 a[28:31], v[132:135], v[52:55], a[28:31], v143, v138 op_sel_hi:[0,0,0] cbsz:4 blgp:4// 000000004028: D3AC7800 1803158F D3AD8C1C 84726984
	s_cselect_b32 s68, s68, 0                                  // 000000004038: 85448044
	buffer_load_dwordx4 v[108:111], v153, s[16:19], 0 offen    // 00000000403C: E05C1000 80046C99
	ds_read_b32 v136, v151                                     // 000000004044: D86C0000 88000097
	v_mfma_scale_f32_16x16x128_f8f6f4 a[48:51], v[120:123], v[56:59], a[48:51], v143, v139 op_sel_hi:[0,0,0] cbsz:4 blgp:4// 00000000404C: D3AC6000 0003178F D3AD8C30 84C27178
	s_add_u32 s12, s12, s66                                    // 00000000405C: 800C420C
	ds_read_b128 v[24:27], v146 offset:4224                    // 000000004060: D9FE1080 18000092
	v_mfma_scale_f32_16x16x128_f8f6f4 a[52:55], v[120:123], v[60:63], a[52:55], v143, v139 op_sel_hi:[0,0,0] cbsz:4 blgp:4// 000000004068: D3AC7000 0003178F D3AD8C34 84D27978
	s_addc_u32 s13, 0, s13                                     // 000000004078: 820D0D80
	buffer_load_dwordx4 v[112:115], v152, s[16:19], 0 offen offset:1024// 00000000407C: E05C1400 80047098
	v_mfma_scale_f32_16x16x128_f8f6f4 a[56:59], v[124:127], v[56:59], a[56:59], v143, v139 op_sel_hi:[0,0,0] cbsz:4 blgp:4// 000000004084: D3AC6800 0003178F D3AD8C38 84E2717C
	s_sub_u32 s14, s14, s66                                    // 000000004094: 808E420E
	ds_read_b128 v[32:35], v146 offset:4288                    // 000000004098: D9FE10C0 20000092
	v_mfma_scale_f32_16x16x128_f8f6f4 a[60:63], v[124:127], v[60:63], a[60:63], v143, v139 op_sel_hi:[0,0,0] cbsz:4 blgp:4// 0000000040A0: D3AC7800 0003178F D3AD8C3C 84F2797C
	s_add_u32 s20, s20, s68                                    // 0000000040B0: 80144414
	buffer_load_dwordx4 v[116:119], v153, s[16:19], 0 offen offset:1024// 0000000040B4: E05C1400 80047499
	v_mfma_scale_f32_16x16x128_f8f6f4 a[48:51], v[128:131], v[64:67], a[48:51], v143, v139 op_sel_hi:[0,0,0] cbsz:4 blgp:4// 0000000040BC: D3AC6000 1803178F D3AD8C30 84C28180
	s_addc_u32 s21, 0, s21                                     // 0000000040CC: 82151580
	ds_read_b128 v[28:31], v146 offset:4736                    // 0000000040D0: D9FE1280 1C000092
	v_mfma_scale_f32_16x16x128_f8f6f4 a[52:55], v[128:131], v[68:71], a[52:55], v143, v139 op_sel_hi:[0,0,0] cbsz:4 blgp:4// 0000000040D8: D3AC7000 1803178F D3AD8C34 84D28980
	s_sub_u32 s22, s22, s68                                    // 0000000040E8: 80964416
	buffer_load_dword v142, v156, s[24:27], 0 offen            // 0000000040EC: E0501000 80068E9C
	v_mfma_scale_f32_16x16x128_f8f6f4 a[56:59], v[132:135], v[64:67], a[56:59], v143, v139 op_sel_hi:[0,0,0] cbsz:4 blgp:4// 0000000040F4: D3AC6800 1803178F D3AD8C38 84E28184
	s_addk_i32 s60, 0x100                                      // 000000004104: B73C0100
	ds_read_b128 v[36:39], v146 offset:4800                    // 000000004108: D9FE12C0 24000092
	v_mfma_scale_f32_16x16x128_f8f6f4 a[60:63], v[132:135], v[68:71], a[60:63], v143, v139 op_sel_hi:[0,0,0] cbsz:4 blgp:4// 000000004110: D3AC7800 1803178F D3AD8C3C 84F28984
	s_cmp_lt_i32 s60, s61                                      // 000000004120: BF043D3C
	ds_read_b32 v137, v151 offset:256                          // 000000004124: D86C0100 89000097
	s_cbranch_scc0 label_0890                                  // 00000000412C: BF840344
	s_branch label_020A                                        // 000000004130: BF82FCBD

0000000000004134 <label_054D>:
	s_waitcnt vmcnt(13) lgkmcnt(5)                             // 000000004134: BF8C057D
	v_mfma_scale_f32_16x16x128_f8f6f4 a[0:3], v[72:75], v[8:11], a[0:3], v140, v136 op_sel_hi:[0,0,0] cbsz:4 blgp:4// 000000004138: D3AC6000 0003118C D3AD8C00 84021148
	s_add_u32 s63, 0x200, s60                                  // 000000004148: 803F3CFF 00000200
	buffer_load_dwordx4 v[120:123], v154, s[16:19], 0 offen    // 000000004150: E05C1000 8004789A
	v_mfma_scale_f32_16x16x128_f8f6f4 a[4:7], v[72:75], v[12:15], a[4:7], v140, v136 op_sel_hi:[0,0,0] cbsz:4 blgp:4// 000000004158: D3AC7000 0003118C D3AD8C04 84121948
	s_cmp_lt_u32 s63, s61                                      // 000000004168: BF0A3D3F
	s_cselect_b32 s67, s67, 0                                  // 00000000416C: 85438043
	v_mfma_scale_f32_16x16x128_f8f6f4 a[8:11], v[76:79], v[8:11], a[8:11], v140, v136 op_sel_hi:[0,0,0] cbsz:4 blgp:4// 000000004170: D3AC6800 0003118C D3AD8C08 8422114C
	s_cselect_b32 s69, s69, 0                                  // 000000004180: 85458045
	buffer_load_dwordx4 v[124:127], v155, s[16:19], 0 offen    // 000000004184: E05C1000 80047C9B
	v_mfma_scale_f32_16x16x128_f8f6f4 a[12:15], v[76:79], v[12:15], a[12:15], v140, v136 op_sel_hi:[0,0,0] cbsz:4 blgp:4// 00000000418C: D3AC7800 0003118C D3AD8C0C 8432194C
	v_mfma_scale_f32_16x16x128_f8f6f4 a[0:3], v[80:83], v[16:19], a[0:3], v140, v136 op_sel_hi:[0,0,0] cbsz:4 blgp:4// 00000000419C: D3AC6000 1803118C D3AD8C00 84022150
	buffer_load_dwordx4 v[128:131], v154, s[16:19], 0 offen offset:1024// 0000000041AC: E05C1400 8004809A
	v_mfma_scale_f32_16x16x128_f8f6f4 a[4:7], v[80:83], v[20:23], a[4:7], v140, v136 op_sel_hi:[0,0,0] cbsz:4 blgp:4// 0000000041B4: D3AC7000 1803118C D3AD8C04 84122950
	v_mfma_scale_f32_16x16x128_f8f6f4 a[8:11], v[84:87], v[16:19], a[8:11], v140, v136 op_sel_hi:[0,0,0] cbsz:4 blgp:4// 0000000041C4: D3AC6800 1803118C D3AD8C08 84222154
	buffer_load_dwordx4 v[132:135], v155, s[16:19], 0 offen offset:1024// 0000000041D4: E05C1400 8004849B
	v_mfma_scale_f32_16x16x128_f8f6f4 a[12:15], v[84:87], v[20:23], a[12:15], v140, v136 op_sel_hi:[0,0,0] cbsz:4 blgp:4// 0000000041DC: D3AC7800 1803118C D3AD8C0C 84322954
	s_waitcnt lgkmcnt(0)                                       // 0000000041EC: BF8CC07F
	v_mfma_scale_f32_16x16x128_f8f6f4 a[32:35], v[72:75], v[24:27], a[32:35], v140, v137 op_sel_hi:[0,0,0] cbsz:4 blgp:4// 0000000041F0: D3AC6000 0003138C D3AD8C20 84823148
	buffer_load_dword v143, v157, s[24:27], 0 offen            // 000000004200: E0501000 80068F9D
	v_mfma_scale_f32_16x16x128_f8f6f4 a[36:39], v[72:75], v[28:31], a[36:39], v140, v137 op_sel_hi:[0,0,0] cbsz:4 blgp:4// 000000004208: D3AC7000 0003138C D3AD8C24 84923948
	s_add_u32 s16, s16, s67                                    // 000000004218: 80104310
	s_addc_u32 s17, 0, s17                                     // 00000000421C: 82111180
	v_mfma_scale_f32_16x16x128_f8f6f4 a[40:43], v[76:79], v[24:27], a[40:43], v140, v137 op_sel_hi:[0,0,0] cbsz:4 blgp:4// 000000004220: D3AC6800 0003138C D3AD8C28 84A2314C
	s_sub_u32 s18, s18, s67                                    // 000000004230: 80924312
	s_add_u32 s24, s24, s69                                    // 000000004234: 80184518
	v_mfma_scale_f32_16x16x128_f8f6f4 a[44:47], v[76:79], v[28:31], a[44:47], v140, v137 op_sel_hi:[0,0,0] cbsz:4 blgp:4// 000000004238: D3AC7800 0003138C D3AD8C2C 84B2394C
	s_addc_u32 s25, 0, s25                                     // 000000004248: 82191980
	s_sub_u32 s26, s26, s69                                    // 00000000424C: 809A451A
	v_mfma_scale_f32_16x16x128_f8f6f4 a[32:35], v[80:83], v[32:35], a[32:35], v140, v137 op_sel_hi:[0,0,0] cbsz:4 blgp:4// 000000004250: D3AC6000 1803138C D3AD8C20 84824150
	s_add_u32 m0, 0x800, s65                                   // 000000004260: 807C41FF 00000800
	buffer_load_dword v150, s[20:23], 0 offen lds              // 000000004268: E0511000 80050096
	v_mfma_scale_f32_16x16x128_f8f6f4 a[36:39], v[80:83], v[36:39], a[36:39], v140, v137 op_sel_hi:[0,0,0] cbsz:4 blgp:4// 000000004270: D3AC7000 1803138C D3AD8C24 84924950
	v_mfma_scale_f32_16x16x128_f8f6f4 a[40:43], v[84:87], v[32:35], a[40:43], v140, v137 op_sel_hi:[0,0,0] cbsz:4 blgp:4// 000000004280: D3AC6800 1803138C D3AD8C28 84A24154
	v_mfma_scale_f32_16x16x128_f8f6f4 a[44:47], v[84:87], v[36:39], a[44:47], v140, v137 op_sel_hi:[0,0,0] cbsz:4 blgp:4// 000000004290: D3AC7800 1803138C D3AD8C2C 84B24954
	s_waitcnt vmcnt(11)                                        // 0000000042A0: BF8C0F7B
	s_barrier                                                  // 0000000042A4: BF8A0000
	v_mfma_scale_f32_16x16x128_f8f6f4 a[16:19], v[88:91], v[8:11], a[16:19], v141, v136 op_sel_hi:[0,0,0] cbsz:4 blgp:4// 0000000042A8: D3AC6000 0003118D D3AD8C10 84421158
	s_add_u32 m0, 0x4200, s64                                  // 0000000042B8: 807C40FF 00004200
	buffer_load_dwordx4 v144, s[12:15], 0 offen lds            // 0000000042C0: E05D1000 80030090
	v_mfma_scale_f32_16x16x128_f8f6f4 a[20:23], v[88:91], v[12:15], a[20:23], v141, v136 op_sel_hi:[0,0,0] cbsz:4 blgp:4// 0000000042C8: D3AC7000 0003118D D3AD8C14 84521958
	ds_read_b128 v[40:43], v147                                // 0000000042D8: D9FE0000 28000093
	v_mfma_scale_f32_16x16x128_f8f6f4 a[24:27], v[92:95], v[8:11], a[24:27], v141, v136 op_sel_hi:[0,0,0] cbsz:4 blgp:4// 0000000042E0: D3AC6800 0003118D D3AD8C18 8462115C
	s_add_u32 m0, 0x5280, s64                                  // 0000000042F0: 807C40FF 00005280
	buffer_load_dwordx4 v145, s[12:15], 0 offen lds            // 0000000042F8: E05D1000 80030091
	v_mfma_scale_f32_16x16x128_f8f6f4 a[28:31], v[92:95], v[12:15], a[28:31], v141, v136 op_sel_hi:[0,0,0] cbsz:4 blgp:4// 000000004300: D3AC7800 0003118D D3AD8C1C 8472195C
	s_add_u32 s62, 0x300, s60                                  // 000000004310: 803E3CFF 00000300
	ds_read_b128 v[48:51], v147 offset:64                      // 000000004318: D9FE0040 30000093
	v_mfma_scale_f32_16x16x128_f8f6f4 a[16:19], v[96:99], v[16:19], a[16:19], v141, v136 op_sel_hi:[0,0,0] cbsz:4 blgp:4// 000000004320: D3AC6000 1803118D D3AD8C10 84422160
	s_cmp_lt_u32 s62, s61                                      // 000000004330: BF0A3D3E
	buffer_load_dwordx4 v[72:75], v152, s[16:19], 0 offen      // 000000004334: E05C1000 80044898
	v_mfma_scale_f32_16x16x128_f8f6f4 a[20:23], v[96:99], v[20:23], a[20:23], v141, v136 op_sel_hi:[0,0,0] cbsz:4 blgp:4// 00000000433C: D3AC7000 1803118D D3AD8C14 84522960
	s_cselect_b32 s66, s66, 0                                  // 00000000434C: 85428042
	ds_read_b128 v[44:47], v147 offset:512                     // 000000004350: D9FE0200 2C000093
	v_mfma_scale_f32_16x16x128_f8f6f4 a[24:27], v[100:103], v[16:19], a[24:27], v141, v136 op_sel_hi:[0,0,0] cbsz:4 blgp:4// 000000004358: D3AC6800 1803118D D3AD8C18 84622164
	s_cselect_b32 s68, s68, 0                                  // 000000004368: 85448044
	buffer_load_dwordx4 v[76:79], v153, s[16:19], 0 offen      // 00000000436C: E05C1000 80044C99
	v_mfma_scale_f32_16x16x128_f8f6f4 a[28:31], v[100:103], v[20:23], a[28:31], v141, v136 op_sel_hi:[0,0,0] cbsz:4 blgp:4// 000000004374: D3AC7800 1803118D D3AD8C1C 84722964
	s_add_u32 s12, s12, s66                                    // 000000004384: 800C420C
	ds_read_b128 v[52:55], v147 offset:576                     // 000000004388: D9FE0240 34000093
	ds_read_b32 v138, v151 offset:1024                         // 000000004390: D86C0400 8A000097
	v_mfma_scale_f32_16x16x128_f8f6f4 a[48:51], v[88:91], v[24:27], a[48:51], v141, v137 op_sel_hi:[0,0,0] cbsz:4 blgp:4// 000000004398: D3AC6000 0003138D D3AD8C30 84C23158
	s_addc_u32 s13, 0, s13                                     // 0000000043A8: 820D0D80
	buffer_load_dwordx4 v[80:83], v152, s[16:19], 0 offen offset:1024// 0000000043AC: E05C1400 80045098
	v_mfma_scale_f32_16x16x128_f8f6f4 a[52:55], v[88:91], v[28:31], a[52:55], v141, v137 op_sel_hi:[0,0,0] cbsz:4 blgp:4// 0000000043B4: D3AC7000 0003138D D3AD8C34 84D23958
	s_sub_u32 s14, s14, s66                                    // 0000000043C4: 808E420E
	ds_read_b128 v[56:59], v147 offset:4224                    // 0000000043C8: D9FE1080 38000093
	v_mfma_scale_f32_16x16x128_f8f6f4 a[56:59], v[92:95], v[24:27], a[56:59], v141, v137 op_sel_hi:[0,0,0] cbsz:4 blgp:4// 0000000043D0: D3AC6800 0003138D D3AD8C38 84E2315C
	s_add_u32 s20, s20, s68                                    // 0000000043E0: 80144414
	buffer_load_dwordx4 v[84:87], v153, s[16:19], 0 offen offset:1024// 0000000043E4: E05C1400 80045499
	v_mfma_scale_f32_16x16x128_f8f6f4 a[60:63], v[92:95], v[28:31], a[60:63], v141, v137 op_sel_hi:[0,0,0] cbsz:4 blgp:4// 0000000043EC: D3AC7800 0003138D D3AD8C3C 84F2395C
	s_addc_u32 s21, 0, s21                                     // 0000000043FC: 82151580
	ds_read_b128 v[64:67], v147 offset:4288                    // 000000004400: D9FE10C0 40000093
	v_mfma_scale_f32_16x16x128_f8f6f4 a[48:51], v[96:99], v[32:35], a[48:51], v141, v137 op_sel_hi:[0,0,0] cbsz:4 blgp:4// 000000004408: D3AC6000 1803138D D3AD8C30 84C24160
	s_sub_u32 s22, s22, s68                                    // 000000004418: 80964416
	buffer_load_dword v140, v156, s[24:27], 0 offen            // 00000000441C: E0501000 80068C9C
	v_mfma_scale_f32_16x16x128_f8f6f4 a[52:55], v[96:99], v[36:39], a[52:55], v141, v137 op_sel_hi:[0,0,0] cbsz:4 blgp:4// 000000004424: D3AC7000 1803138D D3AD8C34 84D24960
	s_addk_i32 s60, 0x100                                      // 000000004434: B73C0100
	ds_read_b128 v[60:63], v147 offset:4736                    // 000000004438: D9FE1280 3C000093
	v_mfma_scale_f32_16x16x128_f8f6f4 a[56:59], v[100:103], v[32:35], a[56:59], v141, v137 op_sel_hi:[0,0,0] cbsz:4 blgp:4// 000000004440: D3AC6800 1803138D D3AD8C38 84E24164
	s_cmp_lt_i32 s60, s61                                      // 000000004450: BF043D3C
	v_mfma_scale_f32_16x16x128_f8f6f4 a[60:63], v[100:103], v[36:39], a[60:63], v141, v137 op_sel_hi:[0,0,0] cbsz:4 blgp:4// 000000004454: D3AC7800 1803138D D3AD8C3C 84F24964
	ds_read_b128 v[68:71], v147 offset:4800                    // 000000004464: D9FE12C0 44000093
	ds_read_b32 v139, v151 offset:1280                         // 00000000446C: D86C0500 8B000097
	s_cbranch_scc0 label_0890                                  // 000000004474: BF840272
	s_waitcnt vmcnt(13) lgkmcnt(5)                             // 000000004478: BF8C057D
	v_mfma_scale_f32_16x16x128_f8f6f4 a[0:3], v[104:107], v[40:43], a[0:3], v142, v138 op_sel_hi:[0,0,0] cbsz:4 blgp:4// 00000000447C: D3AC6000 0003158E D3AD8C00 84025168
	s_add_u32 s63, 0x200, s60                                  // 00000000448C: 803F3CFF 00000200
	buffer_load_dwordx4 v[88:91], v154, s[16:19], 0 offen      // 000000004494: E05C1000 8004589A
	v_mfma_scale_f32_16x16x128_f8f6f4 a[4:7], v[104:107], v[44:47], a[4:7], v142, v138 op_sel_hi:[0,0,0] cbsz:4 blgp:4// 00000000449C: D3AC7000 0003158E D3AD8C04 84125968
	s_cmp_lt_u32 s63, s61                                      // 0000000044AC: BF0A3D3F
	s_cselect_b32 s67, s67, 0                                  // 0000000044B0: 85438043
	v_mfma_scale_f32_16x16x128_f8f6f4 a[8:11], v[108:111], v[40:43], a[8:11], v142, v138 op_sel_hi:[0,0,0] cbsz:4 blgp:4// 0000000044B4: D3AC6800 0003158E D3AD8C08 8422516C
	s_cselect_b32 s69, s69, 0                                  // 0000000044C4: 85458045
	buffer_load_dwordx4 v[92:95], v155, s[16:19], 0 offen      // 0000000044C8: E05C1000 80045C9B
	v_mfma_scale_f32_16x16x128_f8f6f4 a[12:15], v[108:111], v[44:47], a[12:15], v142, v138 op_sel_hi:[0,0,0] cbsz:4 blgp:4// 0000000044D0: D3AC7800 0003158E D3AD8C0C 8432596C
	v_mfma_scale_f32_16x16x128_f8f6f4 a[0:3], v[112:115], v[48:51], a[0:3], v142, v138 op_sel_hi:[0,0,0] cbsz:4 blgp:4// 0000000044E0: D3AC6000 1803158E D3AD8C00 84026170
	buffer_load_dwordx4 v[96:99], v154, s[16:19], 0 offen offset:1024// 0000000044F0: E05C1400 8004609A
	v_mfma_scale_f32_16x16x128_f8f6f4 a[4:7], v[112:115], v[52:55], a[4:7], v142, v138 op_sel_hi:[0,0,0] cbsz:4 blgp:4// 0000000044F8: D3AC7000 1803158E D3AD8C04 84126970
	v_mfma_scale_f32_16x16x128_f8f6f4 a[8:11], v[116:119], v[48:51], a[8:11], v142, v138 op_sel_hi:[0,0,0] cbsz:4 blgp:4// 000000004508: D3AC6800 1803158E D3AD8C08 84226174
	buffer_load_dwordx4 v[100:103], v155, s[16:19], 0 offen offset:1024// 000000004518: E05C1400 8004649B
	v_mfma_scale_f32_16x16x128_f8f6f4 a[12:15], v[116:119], v[52:55], a[12:15], v142, v138 op_sel_hi:[0,0,0] cbsz:4 blgp:4// 000000004520: D3AC7800 1803158E D3AD8C0C 84326974
	s_waitcnt lgkmcnt(0)                                       // 000000004530: BF8CC07F
	v_mfma_scale_f32_16x16x128_f8f6f4 a[32:35], v[104:107], v[56:59], a[32:35], v142, v139 op_sel_hi:[0,0,0] cbsz:4 blgp:4// 000000004534: D3AC6000 0003178E D3AD8C20 84827168
	buffer_load_dword v141, v157, s[24:27], 0 offen            // 000000004544: E0501000 80068D9D
	v_mfma_scale_f32_16x16x128_f8f6f4 a[36:39], v[104:107], v[60:63], a[36:39], v142, v139 op_sel_hi:[0,0,0] cbsz:4 blgp:4// 00000000454C: D3AC7000 0003178E D3AD8C24 84927968
	s_add_u32 s16, s16, s67                                    // 00000000455C: 80104310
	s_addc_u32 s17, 0, s17                                     // 000000004560: 82111180
	v_mfma_scale_f32_16x16x128_f8f6f4 a[40:43], v[108:111], v[56:59], a[40:43], v142, v139 op_sel_hi:[0,0,0] cbsz:4 blgp:4// 000000004564: D3AC6800 0003178E D3AD8C28 84A2716C
	s_sub_u32 s18, s18, s67                                    // 000000004574: 80924312
	s_add_u32 s24, s24, s69                                    // 000000004578: 80184518
	v_mfma_scale_f32_16x16x128_f8f6f4 a[44:47], v[108:111], v[60:63], a[44:47], v142, v139 op_sel_hi:[0,0,0] cbsz:4 blgp:4// 00000000457C: D3AC7800 0003178E D3AD8C2C 84B2796C
	s_addc_u32 s25, 0, s25                                     // 00000000458C: 82191980
	s_sub_u32 s26, s26, s69                                    // 000000004590: 809A451A
	v_mfma_scale_f32_16x16x128_f8f6f4 a[32:35], v[112:115], v[64:67], a[32:35], v142, v139 op_sel_hi:[0,0,0] cbsz:4 blgp:4// 000000004594: D3AC6000 1803178E D3AD8C20 84828170
	s_add_u32 m0, 0xc00, s65                                   // 0000000045A4: 807C41FF 00000C00
	buffer_load_dword v150, s[20:23], 0 offen lds              // 0000000045AC: E0511000 80050096
	v_mfma_scale_f32_16x16x128_f8f6f4 a[36:39], v[112:115], v[68:71], a[36:39], v142, v139 op_sel_hi:[0,0,0] cbsz:4 blgp:4// 0000000045B4: D3AC7000 1803178E D3AD8C24 84928970
	v_mfma_scale_f32_16x16x128_f8f6f4 a[40:43], v[116:119], v[64:67], a[40:43], v142, v139 op_sel_hi:[0,0,0] cbsz:4 blgp:4// 0000000045C4: D3AC6800 1803178E D3AD8C28 84A28174
	v_mfma_scale_f32_16x16x128_f8f6f4 a[44:47], v[116:119], v[68:71], a[44:47], v142, v139 op_sel_hi:[0,0,0] cbsz:4 blgp:4// 0000000045D4: D3AC7800 1803178E D3AD8C2C 84B28974
	s_waitcnt vmcnt(11)                                        // 0000000045E4: BF8C0F7B
	s_barrier                                                  // 0000000045E8: BF8A0000
	v_mfma_scale_f32_16x16x128_f8f6f4 a[16:19], v[120:123], v[40:43], a[16:19], v143, v138 op_sel_hi:[0,0,0] cbsz:4 blgp:4// 0000000045EC: D3AC6000 0003158F D3AD8C10 84425178
	s_add_u32 m0, 0x6300, s64                                  // 0000000045FC: 807C40FF 00006300
	buffer_load_dwordx4 v144, s[12:15], 0 offen lds            // 000000004604: E05D1000 80030090
	v_mfma_scale_f32_16x16x128_f8f6f4 a[20:23], v[120:123], v[44:47], a[20:23], v143, v138 op_sel_hi:[0,0,0] cbsz:4 blgp:4// 00000000460C: D3AC7000 0003158F D3AD8C14 84525978
	ds_read_b128 v[8:11], v148                                 // 00000000461C: D9FE0000 08000094
	v_mfma_scale_f32_16x16x128_f8f6f4 a[24:27], v[124:127], v[40:43], a[24:27], v143, v138 op_sel_hi:[0,0,0] cbsz:4 blgp:4// 000000004624: D3AC6800 0003158F D3AD8C18 8462517C
	s_add_u32 m0, 0x7380, s64                                  // 000000004634: 807C40FF 00007380
	buffer_load_dwordx4 v145, s[12:15], 0 offen lds            // 00000000463C: E05D1000 80030091
	v_mfma_scale_f32_16x16x128_f8f6f4 a[28:31], v[124:127], v[44:47], a[28:31], v143, v138 op_sel_hi:[0,0,0] cbsz:4 blgp:4// 000000004644: D3AC7800 0003158F D3AD8C1C 8472597C
	s_add_u32 s62, 0x300, s60                                  // 000000004654: 803E3CFF 00000300
	ds_read_b128 v[16:19], v148 offset:64                      // 00000000465C: D9FE0040 10000094
	v_mfma_scale_f32_16x16x128_f8f6f4 a[16:19], v[128:131], v[48:51], a[16:19], v143, v138 op_sel_hi:[0,0,0] cbsz:4 blgp:4// 000000004664: D3AC6000 1803158F D3AD8C10 84426180
	s_cmp_lt_u32 s62, s61                                      // 000000004674: BF0A3D3E
	buffer_load_dwordx4 v[104:107], v152, s[16:19], 0 offen    // 000000004678: E05C1000 80046898
	v_mfma_scale_f32_16x16x128_f8f6f4 a[20:23], v[128:131], v[52:55], a[20:23], v143, v138 op_sel_hi:[0,0,0] cbsz:4 blgp:4// 000000004680: D3AC7000 1803158F D3AD8C14 84526980
	s_cselect_b32 s66, s66, 0                                  // 000000004690: 85428042
	ds_read_b128 v[12:15], v148 offset:512                     // 000000004694: D9FE0200 0C000094
	v_mfma_scale_f32_16x16x128_f8f6f4 a[24:27], v[132:135], v[48:51], a[24:27], v143, v138 op_sel_hi:[0,0,0] cbsz:4 blgp:4// 00000000469C: D3AC6800 1803158F D3AD8C18 84626184
	s_cselect_b32 s68, s68, 0                                  // 0000000046AC: 85448044
	buffer_load_dwordx4 v[108:111], v153, s[16:19], 0 offen    // 0000000046B0: E05C1000 80046C99
	v_mfma_scale_f32_16x16x128_f8f6f4 a[28:31], v[132:135], v[52:55], a[28:31], v143, v138 op_sel_hi:[0,0,0] cbsz:4 blgp:4// 0000000046B8: D3AC7800 1803158F D3AD8C1C 84726984
	s_add_u32 s12, s12, s66                                    // 0000000046C8: 800C420C
	ds_read_b128 v[20:23], v148 offset:576                     // 0000000046CC: D9FE0240 14000094
	ds_read_b32 v136, v151 offset:2048                         // 0000000046D4: D86C0800 88000097
	v_mfma_scale_f32_16x16x128_f8f6f4 a[48:51], v[120:123], v[56:59], a[48:51], v143, v139 op_sel_hi:[0,0,0] cbsz:4 blgp:4// 0000000046DC: D3AC6000 0003178F D3AD8C30 84C27178
	s_addc_u32 s13, 0, s13                                     // 0000000046EC: 820D0D80
	buffer_load_dwordx4 v[112:115], v152, s[16:19], 0 offen offset:1024// 0000000046F0: E05C1400 80047098
	v_mfma_scale_f32_16x16x128_f8f6f4 a[52:55], v[120:123], v[60:63], a[52:55], v143, v139 op_sel_hi:[0,0,0] cbsz:4 blgp:4// 0000000046F8: D3AC7000 0003178F D3AD8C34 84D27978
	s_sub_u32 s14, s14, s66                                    // 000000004708: 808E420E
	ds_read_b128 v[24:27], v148 offset:4224                    // 00000000470C: D9FE1080 18000094
	v_mfma_scale_f32_16x16x128_f8f6f4 a[56:59], v[124:127], v[56:59], a[56:59], v143, v139 op_sel_hi:[0,0,0] cbsz:4 blgp:4// 000000004714: D3AC6800 0003178F D3AD8C38 84E2717C
	s_add_u32 s20, s20, s68                                    // 000000004724: 80144414
	buffer_load_dwordx4 v[116:119], v153, s[16:19], 0 offen offset:1024// 000000004728: E05C1400 80047499
	v_mfma_scale_f32_16x16x128_f8f6f4 a[60:63], v[124:127], v[60:63], a[60:63], v143, v139 op_sel_hi:[0,0,0] cbsz:4 blgp:4// 000000004730: D3AC7800 0003178F D3AD8C3C 84F2797C
	s_addc_u32 s21, 0, s21                                     // 000000004740: 82151580
	ds_read_b128 v[32:35], v148 offset:4288                    // 000000004744: D9FE10C0 20000094
	v_mfma_scale_f32_16x16x128_f8f6f4 a[48:51], v[128:131], v[64:67], a[48:51], v143, v139 op_sel_hi:[0,0,0] cbsz:4 blgp:4// 00000000474C: D3AC6000 1803178F D3AD8C30 84C28180
	s_sub_u32 s22, s22, s68                                    // 00000000475C: 80964416
	buffer_load_dword v142, v156, s[24:27], 0 offen            // 000000004760: E0501000 80068E9C
	v_mfma_scale_f32_16x16x128_f8f6f4 a[52:55], v[128:131], v[68:71], a[52:55], v143, v139 op_sel_hi:[0,0,0] cbsz:4 blgp:4// 000000004768: D3AC7000 1803178F D3AD8C34 84D28980
	s_addk_i32 s60, 0x100                                      // 000000004778: B73C0100
	ds_read_b128 v[28:31], v148 offset:4736                    // 00000000477C: D9FE1280 1C000094
	v_mfma_scale_f32_16x16x128_f8f6f4 a[56:59], v[132:135], v[64:67], a[56:59], v143, v139 op_sel_hi:[0,0,0] cbsz:4 blgp:4// 000000004784: D3AC6800 1803178F D3AD8C38 84E28184
	s_cmp_lt_i32 s60, s61                                      // 000000004794: BF043D3C
	v_mfma_scale_f32_16x16x128_f8f6f4 a[60:63], v[132:135], v[68:71], a[60:63], v143, v139 op_sel_hi:[0,0,0] cbsz:4 blgp:4// 000000004798: D3AC7800 1803178F D3AD8C3C 84F28984
	ds_read_b128 v[36:39], v148 offset:4800                    // 0000000047A8: D9FE12C0 24000094
	ds_read_b32 v137, v151 offset:2304                         // 0000000047B0: D86C0900 89000097
	s_cbranch_scc0 label_0890                                  // 0000000047B8: BF8401A1
	s_waitcnt vmcnt(13) lgkmcnt(5)                             // 0000000047BC: BF8C057D
	v_mfma_scale_f32_16x16x128_f8f6f4 a[0:3], v[72:75], v[8:11], a[0:3], v140, v136 op_sel_hi:[0,0,0] cbsz:4 blgp:4// 0000000047C0: D3AC6000 0003118C D3AD8C00 84021148
	s_add_u32 s63, 0x200, s60                                  // 0000000047D0: 803F3CFF 00000200
	buffer_load_dwordx4 v[120:123], v154, s[16:19], 0 offen    // 0000000047D8: E05C1000 8004789A
	v_mfma_scale_f32_16x16x128_f8f6f4 a[4:7], v[72:75], v[12:15], a[4:7], v140, v136 op_sel_hi:[0,0,0] cbsz:4 blgp:4// 0000000047E0: D3AC7000 0003118C D3AD8C04 84121948
	s_cmp_lt_u32 s63, s61                                      // 0000000047F0: BF0A3D3F
	s_cselect_b32 s67, s67, 0                                  // 0000000047F4: 85438043
	v_mfma_scale_f32_16x16x128_f8f6f4 a[8:11], v[76:79], v[8:11], a[8:11], v140, v136 op_sel_hi:[0,0,0] cbsz:4 blgp:4// 0000000047F8: D3AC6800 0003118C D3AD8C08 8422114C
	s_cselect_b32 s69, s69, 0                                  // 000000004808: 85458045
	buffer_load_dwordx4 v[124:127], v155, s[16:19], 0 offen    // 00000000480C: E05C1000 80047C9B
	v_mfma_scale_f32_16x16x128_f8f6f4 a[12:15], v[76:79], v[12:15], a[12:15], v140, v136 op_sel_hi:[0,0,0] cbsz:4 blgp:4// 000000004814: D3AC7800 0003118C D3AD8C0C 8432194C
	v_mfma_scale_f32_16x16x128_f8f6f4 a[0:3], v[80:83], v[16:19], a[0:3], v140, v136 op_sel_hi:[0,0,0] cbsz:4 blgp:4// 000000004824: D3AC6000 1803118C D3AD8C00 84022150
	buffer_load_dwordx4 v[128:131], v154, s[16:19], 0 offen offset:1024// 000000004834: E05C1400 8004809A
	v_mfma_scale_f32_16x16x128_f8f6f4 a[4:7], v[80:83], v[20:23], a[4:7], v140, v136 op_sel_hi:[0,0,0] cbsz:4 blgp:4// 00000000483C: D3AC7000 1803118C D3AD8C04 84122950
	v_mfma_scale_f32_16x16x128_f8f6f4 a[8:11], v[84:87], v[16:19], a[8:11], v140, v136 op_sel_hi:[0,0,0] cbsz:4 blgp:4// 00000000484C: D3AC6800 1803118C D3AD8C08 84222154
	buffer_load_dwordx4 v[132:135], v155, s[16:19], 0 offen offset:1024// 00000000485C: E05C1400 8004849B
	v_mfma_scale_f32_16x16x128_f8f6f4 a[12:15], v[84:87], v[20:23], a[12:15], v140, v136 op_sel_hi:[0,0,0] cbsz:4 blgp:4// 000000004864: D3AC7800 1803118C D3AD8C0C 84322954
	s_waitcnt lgkmcnt(0)                                       // 000000004874: BF8CC07F
	v_mfma_scale_f32_16x16x128_f8f6f4 a[32:35], v[72:75], v[24:27], a[32:35], v140, v137 op_sel_hi:[0,0,0] cbsz:4 blgp:4// 000000004878: D3AC6000 0003138C D3AD8C20 84823148
	buffer_load_dword v143, v157, s[24:27], 0 offen            // 000000004888: E0501000 80068F9D
	v_mfma_scale_f32_16x16x128_f8f6f4 a[36:39], v[72:75], v[28:31], a[36:39], v140, v137 op_sel_hi:[0,0,0] cbsz:4 blgp:4// 000000004890: D3AC7000 0003138C D3AD8C24 84923948
	s_add_u32 s16, s16, s67                                    // 0000000048A0: 80104310
	s_addc_u32 s17, 0, s17                                     // 0000000048A4: 82111180
	v_mfma_scale_f32_16x16x128_f8f6f4 a[40:43], v[76:79], v[24:27], a[40:43], v140, v137 op_sel_hi:[0,0,0] cbsz:4 blgp:4// 0000000048A8: D3AC6800 0003138C D3AD8C28 84A2314C
	s_sub_u32 s18, s18, s67                                    // 0000000048B8: 80924312
	s_add_u32 s24, s24, s69                                    // 0000000048BC: 80184518
	v_mfma_scale_f32_16x16x128_f8f6f4 a[44:47], v[76:79], v[28:31], a[44:47], v140, v137 op_sel_hi:[0,0,0] cbsz:4 blgp:4// 0000000048C0: D3AC7800 0003138C D3AD8C2C 84B2394C
	s_addc_u32 s25, 0, s25                                     // 0000000048D0: 82191980
	s_sub_u32 s26, s26, s69                                    // 0000000048D4: 809A451A
	v_mfma_scale_f32_16x16x128_f8f6f4 a[32:35], v[80:83], v[32:35], a[32:35], v140, v137 op_sel_hi:[0,0,0] cbsz:4 blgp:4// 0000000048D8: D3AC6000 1803138C D3AD8C20 84824150
	s_add_u32 m0, 0, s65                                       // 0000000048E8: 807C4180
	buffer_load_dword v150, s[20:23], 0 offen lds              // 0000000048EC: E0511000 80050096
	v_mfma_scale_f32_16x16x128_f8f6f4 a[36:39], v[80:83], v[36:39], a[36:39], v140, v137 op_sel_hi:[0,0,0] cbsz:4 blgp:4// 0000000048F4: D3AC7000 1803138C D3AD8C24 84924950
	v_mfma_scale_f32_16x16x128_f8f6f4 a[40:43], v[84:87], v[32:35], a[40:43], v140, v137 op_sel_hi:[0,0,0] cbsz:4 blgp:4// 000000004904: D3AC6800 1803138C D3AD8C28 84A24154
	v_mfma_scale_f32_16x16x128_f8f6f4 a[44:47], v[84:87], v[36:39], a[44:47], v140, v137 op_sel_hi:[0,0,0] cbsz:4 blgp:4// 000000004914: D3AC7800 1803138C D3AD8C2C 84B24954
	s_waitcnt vmcnt(11)                                        // 000000004924: BF8C0F7B
	s_barrier                                                  // 000000004928: BF8A0000
	v_mfma_scale_f32_16x16x128_f8f6f4 a[16:19], v[88:91], v[8:11], a[16:19], v141, v136 op_sel_hi:[0,0,0] cbsz:4 blgp:4// 00000000492C: D3AC6000 0003118D D3AD8C10 84421158
	s_add_u32 m0, 0, s64                                       // 00000000493C: 807C4080
	buffer_load_dwordx4 v144, s[12:15], 0 offen lds            // 000000004940: E05D1000 80030090
	v_mfma_scale_f32_16x16x128_f8f6f4 a[20:23], v[88:91], v[12:15], a[20:23], v141, v136 op_sel_hi:[0,0,0] cbsz:4 blgp:4// 000000004948: D3AC7000 0003118D D3AD8C14 84521958
	ds_read_b128 v[40:43], v149                                // 000000004958: D9FE0000 28000095
	v_mfma_scale_f32_16x16x128_f8f6f4 a[24:27], v[92:95], v[8:11], a[24:27], v141, v136 op_sel_hi:[0,0,0] cbsz:4 blgp:4// 000000004960: D3AC6800 0003118D D3AD8C18 8462115C
	s_add_u32 m0, 0x1080, s64                                  // 000000004970: 807C40FF 00001080
	buffer_load_dwordx4 v145, s[12:15], 0 offen lds            // 000000004978: E05D1000 80030091
	v_mfma_scale_f32_16x16x128_f8f6f4 a[28:31], v[92:95], v[12:15], a[28:31], v141, v136 op_sel_hi:[0,0,0] cbsz:4 blgp:4// 000000004980: D3AC7800 0003118D D3AD8C1C 8472195C
	s_add_u32 s62, 0x300, s60                                  // 000000004990: 803E3CFF 00000300
	ds_read_b128 v[48:51], v149 offset:64                      // 000000004998: D9FE0040 30000095
	v_mfma_scale_f32_16x16x128_f8f6f4 a[16:19], v[96:99], v[16:19], a[16:19], v141, v136 op_sel_hi:[0,0,0] cbsz:4 blgp:4// 0000000049A0: D3AC6000 1803118D D3AD8C10 84422160
	s_cmp_lt_u32 s62, s61                                      // 0000000049B0: BF0A3D3E
	buffer_load_dwordx4 v[72:75], v152, s[16:19], 0 offen      // 0000000049B4: E05C1000 80044898
	v_mfma_scale_f32_16x16x128_f8f6f4 a[20:23], v[96:99], v[20:23], a[20:23], v141, v136 op_sel_hi:[0,0,0] cbsz:4 blgp:4// 0000000049BC: D3AC7000 1803118D D3AD8C14 84522960
	s_cselect_b32 s66, s66, 0                                  // 0000000049CC: 85428042
	ds_read_b128 v[44:47], v149 offset:512                     // 0000000049D0: D9FE0200 2C000095
	v_mfma_scale_f32_16x16x128_f8f6f4 a[24:27], v[100:103], v[16:19], a[24:27], v141, v136 op_sel_hi:[0,0,0] cbsz:4 blgp:4// 0000000049D8: D3AC6800 1803118D D3AD8C18 84622164
	s_cselect_b32 s68, s68, 0                                  // 0000000049E8: 85448044
	buffer_load_dwordx4 v[76:79], v153, s[16:19], 0 offen      // 0000000049EC: E05C1000 80044C99
	v_mfma_scale_f32_16x16x128_f8f6f4 a[28:31], v[100:103], v[20:23], a[28:31], v141, v136 op_sel_hi:[0,0,0] cbsz:4 blgp:4// 0000000049F4: D3AC7800 1803118D D3AD8C1C 84722964
	s_add_u32 s12, s12, s66                                    // 000000004A04: 800C420C
	ds_read_b128 v[52:55], v149 offset:576                     // 000000004A08: D9FE0240 34000095
	ds_read_b32 v138, v151 offset:3072                         // 000000004A10: D86C0C00 8A000097
	v_mfma_scale_f32_16x16x128_f8f6f4 a[48:51], v[88:91], v[24:27], a[48:51], v141, v137 op_sel_hi:[0,0,0] cbsz:4 blgp:4// 000000004A18: D3AC6000 0003138D D3AD8C30 84C23158
	s_addc_u32 s13, 0, s13                                     // 000000004A28: 820D0D80
	buffer_load_dwordx4 v[80:83], v152, s[16:19], 0 offen offset:1024// 000000004A2C: E05C1400 80045098
	v_mfma_scale_f32_16x16x128_f8f6f4 a[52:55], v[88:91], v[28:31], a[52:55], v141, v137 op_sel_hi:[0,0,0] cbsz:4 blgp:4// 000000004A34: D3AC7000 0003138D D3AD8C34 84D23958
	s_sub_u32 s14, s14, s66                                    // 000000004A44: 808E420E
	ds_read_b128 v[56:59], v149 offset:4224                    // 000000004A48: D9FE1080 38000095
	v_mfma_scale_f32_16x16x128_f8f6f4 a[56:59], v[92:95], v[24:27], a[56:59], v141, v137 op_sel_hi:[0,0,0] cbsz:4 blgp:4// 000000004A50: D3AC6800 0003138D D3AD8C38 84E2315C
	s_add_u32 s20, s20, s68                                    // 000000004A60: 80144414
	buffer_load_dwordx4 v[84:87], v153, s[16:19], 0 offen offset:1024// 000000004A64: E05C1400 80045499
	v_mfma_scale_f32_16x16x128_f8f6f4 a[60:63], v[92:95], v[28:31], a[60:63], v141, v137 op_sel_hi:[0,0,0] cbsz:4 blgp:4// 000000004A6C: D3AC7800 0003138D D3AD8C3C 84F2395C
	s_addc_u32 s21, 0, s21                                     // 000000004A7C: 82151580
	ds_read_b128 v[64:67], v149 offset:4288                    // 000000004A80: D9FE10C0 40000095
	v_mfma_scale_f32_16x16x128_f8f6f4 a[48:51], v[96:99], v[32:35], a[48:51], v141, v137 op_sel_hi:[0,0,0] cbsz:4 blgp:4// 000000004A88: D3AC6000 1803138D D3AD8C30 84C24160
	s_sub_u32 s22, s22, s68                                    // 000000004A98: 80964416
	buffer_load_dword v140, v156, s[24:27], 0 offen            // 000000004A9C: E0501000 80068C9C
	v_mfma_scale_f32_16x16x128_f8f6f4 a[52:55], v[96:99], v[36:39], a[52:55], v141, v137 op_sel_hi:[0,0,0] cbsz:4 blgp:4// 000000004AA4: D3AC7000 1803138D D3AD8C34 84D24960
	s_addk_i32 s60, 0x100                                      // 000000004AB4: B73C0100
	ds_read_b128 v[60:63], v149 offset:4736                    // 000000004AB8: D9FE1280 3C000095
	v_mfma_scale_f32_16x16x128_f8f6f4 a[56:59], v[100:103], v[32:35], a[56:59], v141, v137 op_sel_hi:[0,0,0] cbsz:4 blgp:4// 000000004AC0: D3AC6800 1803138D D3AD8C38 84E24164
	s_cmp_lt_i32 s60, s61                                      // 000000004AD0: BF043D3C
	v_mfma_scale_f32_16x16x128_f8f6f4 a[60:63], v[100:103], v[36:39], a[60:63], v141, v137 op_sel_hi:[0,0,0] cbsz:4 blgp:4// 000000004AD4: D3AC7800 1803138D D3AD8C3C 84F24964
	ds_read_b128 v[68:71], v149 offset:4800                    // 000000004AE4: D9FE12C0 44000095
	ds_read_b32 v139, v151 offset:3328                         // 000000004AEC: D86C0D00 8B000097
	s_cbranch_scc0 label_0890                                  // 000000004AF4: BF8400D2
	s_waitcnt vmcnt(13) lgkmcnt(5)                             // 000000004AF8: BF8C057D
	v_mfma_scale_f32_16x16x128_f8f6f4 a[0:3], v[104:107], v[40:43], a[0:3], v142, v138 op_sel_hi:[0,0,0] cbsz:4 blgp:4// 000000004AFC: D3AC6000 0003158E D3AD8C00 84025168
	s_add_u32 s63, 0x200, s60                                  // 000000004B0C: 803F3CFF 00000200
	buffer_load_dwordx4 v[88:91], v154, s[16:19], 0 offen      // 000000004B14: E05C1000 8004589A
	v_mfma_scale_f32_16x16x128_f8f6f4 a[4:7], v[104:107], v[44:47], a[4:7], v142, v138 op_sel_hi:[0,0,0] cbsz:4 blgp:4// 000000004B1C: D3AC7000 0003158E D3AD8C04 84125968
	s_cmp_lt_u32 s63, s61                                      // 000000004B2C: BF0A3D3F
	s_cselect_b32 s67, s67, 0                                  // 000000004B30: 85438043
	v_mfma_scale_f32_16x16x128_f8f6f4 a[8:11], v[108:111], v[40:43], a[8:11], v142, v138 op_sel_hi:[0,0,0] cbsz:4 blgp:4// 000000004B34: D3AC6800 0003158E D3AD8C08 8422516C
	s_cselect_b32 s69, s69, 0                                  // 000000004B44: 85458045
	buffer_load_dwordx4 v[92:95], v155, s[16:19], 0 offen      // 000000004B48: E05C1000 80045C9B
	v_mfma_scale_f32_16x16x128_f8f6f4 a[12:15], v[108:111], v[44:47], a[12:15], v142, v138 op_sel_hi:[0,0,0] cbsz:4 blgp:4// 000000004B50: D3AC7800 0003158E D3AD8C0C 8432596C
	v_mfma_scale_f32_16x16x128_f8f6f4 a[0:3], v[112:115], v[48:51], a[0:3], v142, v138 op_sel_hi:[0,0,0] cbsz:4 blgp:4// 000000004B60: D3AC6000 1803158E D3AD8C00 84026170
	buffer_load_dwordx4 v[96:99], v154, s[16:19], 0 offen offset:1024// 000000004B70: E05C1400 8004609A
	v_mfma_scale_f32_16x16x128_f8f6f4 a[4:7], v[112:115], v[52:55], a[4:7], v142, v138 op_sel_hi:[0,0,0] cbsz:4 blgp:4// 000000004B78: D3AC7000 1803158E D3AD8C04 84126970
	v_mfma_scale_f32_16x16x128_f8f6f4 a[8:11], v[116:119], v[48:51], a[8:11], v142, v138 op_sel_hi:[0,0,0] cbsz:4 blgp:4// 000000004B88: D3AC6800 1803158E D3AD8C08 84226174
	buffer_load_dwordx4 v[100:103], v155, s[16:19], 0 offen offset:1024// 000000004B98: E05C1400 8004649B
	v_mfma_scale_f32_16x16x128_f8f6f4 a[12:15], v[116:119], v[52:55], a[12:15], v142, v138 op_sel_hi:[0,0,0] cbsz:4 blgp:4// 000000004BA0: D3AC7800 1803158E D3AD8C0C 84326974
	s_waitcnt lgkmcnt(0)                                       // 000000004BB0: BF8CC07F
	v_mfma_scale_f32_16x16x128_f8f6f4 a[32:35], v[104:107], v[56:59], a[32:35], v142, v139 op_sel_hi:[0,0,0] cbsz:4 blgp:4// 000000004BB4: D3AC6000 0003178E D3AD8C20 84827168
	buffer_load_dword v141, v157, s[24:27], 0 offen            // 000000004BC4: E0501000 80068D9D
	v_mfma_scale_f32_16x16x128_f8f6f4 a[36:39], v[104:107], v[60:63], a[36:39], v142, v139 op_sel_hi:[0,0,0] cbsz:4 blgp:4// 000000004BCC: D3AC7000 0003178E D3AD8C24 84927968
	s_add_u32 s16, s16, s67                                    // 000000004BDC: 80104310
	s_addc_u32 s17, 0, s17                                     // 000000004BE0: 82111180
	v_mfma_scale_f32_16x16x128_f8f6f4 a[40:43], v[108:111], v[56:59], a[40:43], v142, v139 op_sel_hi:[0,0,0] cbsz:4 blgp:4// 000000004BE4: D3AC6800 0003178E D3AD8C28 84A2716C
	s_sub_u32 s18, s18, s67                                    // 000000004BF4: 80924312
	s_add_u32 s24, s24, s69                                    // 000000004BF8: 80184518
	v_mfma_scale_f32_16x16x128_f8f6f4 a[44:47], v[108:111], v[60:63], a[44:47], v142, v139 op_sel_hi:[0,0,0] cbsz:4 blgp:4// 000000004BFC: D3AC7800 0003178E D3AD8C2C 84B2796C
	s_addc_u32 s25, 0, s25                                     // 000000004C0C: 82191980
	s_sub_u32 s26, s26, s69                                    // 000000004C10: 809A451A
	v_mfma_scale_f32_16x16x128_f8f6f4 a[32:35], v[112:115], v[64:67], a[32:35], v142, v139 op_sel_hi:[0,0,0] cbsz:4 blgp:4// 000000004C14: D3AC4000 1803178E D3AD8C20 84828170
	s_add_u32 m0, 0x400, s65                                   // 000000004C24: 807C41FF 00000400
	buffer_load_dword v150, s[20:23], 0 offen lds              // 000000004C2C: E0511000 80050096
	v_mfma_scale_f32_16x16x128_f8f6f4 a[36:39], v[112:115], v[68:71], a[36:39], v142, v139 op_sel_hi:[0,0,0] cbsz:4 blgp:4// 000000004C34: D3AC7000 1803178E D3AD8C24 84928970
	v_mfma_scale_f32_16x16x128_f8f6f4 a[40:43], v[116:119], v[64:67], a[40:43], v142, v139 op_sel_hi:[0,0,0] cbsz:4 blgp:4// 000000004C44: D3AC6800 1803178E D3AD8C28 84A28174
	v_mfma_scale_f32_16x16x128_f8f6f4 a[44:47], v[116:119], v[68:71], a[44:47], v142, v139 op_sel_hi:[0,0,0] cbsz:4 blgp:4// 000000004C54: D3AC3800 1803178E D3AD8C2C 84B28974
	s_waitcnt vmcnt(11)                                        // 000000004C64: BF8C0F7B
	s_barrier                                                  // 000000004C68: BF8A0000
	v_mfma_scale_f32_16x16x128_f8f6f4 a[16:19], v[120:123], v[40:43], a[16:19], v143, v138 op_sel_hi:[0,0,0] cbsz:4 blgp:4// 000000004C6C: D3AC6000 0003158F D3AD8C10 84425178
	s_add_u32 m0, 0x2100, s64                                  // 000000004C7C: 807C40FF 00002100
	buffer_load_dwordx4 v144, s[12:15], 0 offen lds            // 000000004C84: E05D1000 80030090
	v_mfma_scale_f32_16x16x128_f8f6f4 a[20:23], v[120:123], v[44:47], a[20:23], v143, v138 op_sel_hi:[0,0,0] cbsz:4 blgp:4// 000000004C8C: D3AC7000 0003158F D3AD8C14 84525978
	ds_read_b128 v[8:11], v146                                 // 000000004C9C: D9FE0000 08000092
	v_mfma_scale_f32_16x16x128_f8f6f4 a[24:27], v[124:127], v[40:43], a[24:27], v143, v138 op_sel_hi:[0,0,0] cbsz:4 blgp:4// 000000004CA4: D3AC6800 0003158F D3AD8C18 8462517C
	s_add_u32 m0, 0x3180, s64                                  // 000000004CB4: 807C40FF 00003180
	buffer_load_dwordx4 v145, s[12:15], 0 offen lds            // 000000004CBC: E05D1000 80030091
	v_mfma_scale_f32_16x16x128_f8f6f4 a[28:31], v[124:127], v[44:47], a[28:31], v143, v138 op_sel_hi:[0,0,0] cbsz:4 blgp:4// 000000004CC4: D3AC7800 0003158F D3AD8C1C 8472597C
	s_add_u32 s62, 0x300, s60                                  // 000000004CD4: 803E3CFF 00000300
	ds_read_b128 v[16:19], v146 offset:64                      // 000000004CDC: D9FE0040 10000092
	v_mfma_scale_f32_16x16x128_f8f6f4 a[16:19], v[128:131], v[48:51], a[16:19], v143, v138 op_sel_hi:[0,0,0] cbsz:4 blgp:4// 000000004CE4: D3AC6000 1803158F D3AD8C10 84426180
	s_cmp_lt_u32 s62, s61                                      // 000000004CF4: BF0A3D3E
	buffer_load_dwordx4 v[104:107], v152, s[16:19], 0 offen    // 000000004CF8: E05C1000 80046898
	v_mfma_scale_f32_16x16x128_f8f6f4 a[20:23], v[128:131], v[52:55], a[20:23], v143, v138 op_sel_hi:[0,0,0] cbsz:4 blgp:4// 000000004D00: D3AC7000 1803158F D3AD8C14 84526980
	s_cselect_b32 s66, s66, 0                                  // 000000004D10: 85428042
	ds_read_b128 v[12:15], v146 offset:512                     // 000000004D14: D9FE0200 0C000092
	v_mfma_scale_f32_16x16x128_f8f6f4 a[24:27], v[132:135], v[48:51], a[24:27], v143, v138 op_sel_hi:[0,0,0] cbsz:4 blgp:4// 000000004D1C: D3AC6800 1803158F D3AD8C18 84626184
	s_cselect_b32 s68, s68, 0                                  // 000000004D2C: 85448044
	buffer_load_dwordx4 v[108:111], v153, s[16:19], 0 offen    // 000000004D30: E05C1000 80046C99
	v_mfma_scale_f32_16x16x128_f8f6f4 a[28:31], v[132:135], v[52:55], a[28:31], v143, v138 op_sel_hi:[0,0,0] cbsz:4 blgp:4// 000000004D38: D3AC7800 1803158F D3AD8C1C 84726984
	s_add_u32 s12, s12, s66                                    // 000000004D48: 800C420C
	ds_read_b128 v[20:23], v146 offset:576                     // 000000004D4C: D9FE0240 14000092
	ds_read_b32 v136, v151                                     // 000000004D54: D86C0000 88000097
	v_mfma_scale_f32_16x16x128_f8f6f4 a[48:51], v[120:123], v[56:59], a[48:51], v143, v139 op_sel_hi:[0,0,0] cbsz:4 blgp:4// 000000004D5C: D3AC6000 0003178F D3AD8C30 84C27178
	s_addc_u32 s13, 0, s13                                     // 000000004D6C: 820D0D80
	buffer_load_dwordx4 v[112:115], v152, s[16:19], 0 offen offset:1024// 000000004D70: E05C1400 80047098
	v_mfma_scale_f32_16x16x128_f8f6f4 a[52:55], v[120:123], v[60:63], a[52:55], v143, v139 op_sel_hi:[0,0,0] cbsz:4 blgp:4// 000000004D78: D3AC7000 0003178F D3AD8C34 84D27978
	s_sub_u32 s14, s14, s66                                    // 000000004D88: 808E420E
	ds_read_b128 v[24:27], v146 offset:4224                    // 000000004D8C: D9FE1080 18000092
	v_mfma_scale_f32_16x16x128_f8f6f4 a[56:59], v[124:127], v[56:59], a[56:59], v143, v139 op_sel_hi:[0,0,0] cbsz:4 blgp:4// 000000004D94: D3AC6800 0003178F D3AD8C38 84E2717C
	s_add_u32 s20, s20, s68                                    // 000000004DA4: 80144414
	buffer_load_dwordx4 v[116:119], v153, s[16:19], 0 offen offset:1024// 000000004DA8: E05C1400 80047499
	v_mfma_scale_f32_16x16x128_f8f6f4 a[60:63], v[124:127], v[60:63], a[60:63], v143, v139 op_sel_hi:[0,0,0] cbsz:4 blgp:4// 000000004DB0: D3AC7800 0003178F D3AD8C3C 84F2797C
	s_addc_u32 s21, 0, s21                                     // 000000004DC0: 82151580
	ds_read_b128 v[32:35], v146 offset:4288                    // 000000004DC4: D9FE10C0 20000092
	v_mfma_scale_f32_16x16x128_f8f6f4 a[48:51], v[128:131], v[64:67], a[48:51], v143, v139 op_sel_hi:[0,0,0] cbsz:4 blgp:4// 000000004DCC: D3AC6000 1803178F D3AD8C30 84C28180
	s_sub_u32 s22, s22, s68                                    // 000000004DDC: 80964416
	buffer_load_dword v142, v156, s[24:27], 0 offen            // 000000004DE0: E0501000 80068E9C
	v_mfma_scale_f32_16x16x128_f8f6f4 a[52:55], v[128:131], v[68:71], a[52:55], v143, v139 op_sel_hi:[0,0,0] cbsz:4 blgp:4// 000000004DE8: D3AC7000 1803178F D3AD8C34 84D28980
	s_addk_i32 s60, 0x100                                      // 000000004DF8: B73C0100
	ds_read_b128 v[28:31], v146 offset:4736                    // 000000004DFC: D9FE1280 1C000092
	v_mfma_scale_f32_16x16x128_f8f6f4 a[56:59], v[132:135], v[64:67], a[56:59], v143, v139 op_sel_hi:[0,0,0] cbsz:4 blgp:4// 000000004E04: D3AC6800 1803178F D3AD8C38 84E28184
	s_cmp_lt_i32 s60, s61                                      // 000000004E14: BF043D3C
	v_mfma_scale_f32_16x16x128_f8f6f4 a[60:63], v[132:135], v[68:71], a[60:63], v143, v139 op_sel_hi:[0,0,0] cbsz:4 blgp:4// 000000004E18: D3AC7800 1803178F D3AD8C3C 84F28984
	ds_read_b128 v[36:39], v146 offset:4800                    // 000000004E28: D9FE12C0 24000092
	ds_read_b32 v137, v151 offset:256                          // 000000004E30: D86C0100 89000097
	s_cbranch_scc0 label_0890                                  // 000000004E38: BF840001
	s_branch label_054D                                        // 000000004E3C: BF82FCBD

0000000000004e40 <label_0890>:
	s_waitcnt lgkmcnt(0)                                       // 000000004E40: BF8CC07F
	s_mul_i32 s62, s47, 0x100                                  // 000000004E44: 923EFF2F 00000100
	s_mul_i32 s63, s46, 64                                     // 000000004E4C: 923FC02E
	s_add_u32 s60, s62, s63                                    // 000000004E50: 803C3F3E
	s_add_u32 s62, s60, 64                                     // 000000004E54: 803EC03C
	s_cmp_lt_i32 s44, s62                                      // 000000004E58: BF043E2C
	s_cbranch_scc1 label_099C                                  // 000000004E5C: BF850104
	s_mul_i32 s62, s36, 16                                     // 000000004E60: 923E9024
	v_add_u32_e32 v162, 0, v158                                // 000000004E64: 69453C80
	v_accvgpr_read_b32 v8, a0                                  // 000000004E68: D3D84008 18000100
	v_accvgpr_read_b32 v9, a1                                  // 000000004E70: D3D84009 18000101
	v_accvgpr_read_b32 v10, a2                                 // 000000004E78: D3D8400A 18000102
	v_accvgpr_read_b32 v11, a3                                 // 000000004E80: D3D8400B 18000103
	v_accvgpr_read_b32 v12, a8                                 // 000000004E88: D3D8400C 18000108
	v_accvgpr_read_b32 v13, a9                                 // 000000004E90: D3D8400D 18000109
	v_accvgpr_read_b32 v14, a10                                // 000000004E98: D3D8400E 1800010A
	v_accvgpr_read_b32 v15, a11                                // 000000004EA0: D3D8400F 1800010B
	v_cvt_pk_bf16_f32 v16, v8, v9                              // 000000004EA8: D2680010 00021308
	v_cvt_pk_bf16_f32 v17, v10, v11                            // 000000004EB0: D2680011 0002170A
	v_cvt_pk_bf16_f32 v18, v12, v13                            // 000000004EB8: D2680012 00021B0C
	v_cvt_pk_bf16_f32 v19, v14, v15                            // 000000004EC0: D2680013 00021F0E
	s_nop 1                                                    // 000000004EC8: BF800001
	v_permlane16_swap_b32_e32 v16, v18                         // 000000004ECC: 7E20B312
	s_nop 1                                                    // 000000004ED0: BF800001
	v_permlane16_swap_b32_e32 v17, v19                         // 000000004ED4: 7E22B313
	s_nop 1                                                    // 000000004ED8: BF800001
	buffer_store_dwordx4 v[16:19], v162, s[4:7], 0 offen       // 000000004EDC: E07C1000 800110A2
	v_add_u32_e32 v162, s62, v162                              // 000000004EE4: 6945443E
	v_accvgpr_read_b32 v8, a4                                  // 000000004EE8: D3D84008 18000104
	v_accvgpr_read_b32 v9, a5                                  // 000000004EF0: D3D84009 18000105
	v_accvgpr_read_b32 v10, a6                                 // 000000004EF8: D3D8400A 18000106
	v_accvgpr_read_b32 v11, a7                                 // 000000004F00: D3D8400B 18000107
	v_accvgpr_read_b32 v12, a12                                // 000000004F08: D3D8400C 1800010C
	v_accvgpr_read_b32 v13, a13                                // 000000004F10: D3D8400D 1800010D
	v_accvgpr_read_b32 v14, a14                                // 000000004F18: D3D8400E 1800010E
	v_accvgpr_read_b32 v15, a15                                // 000000004F20: D3D8400F 1800010F
	v_cvt_pk_bf16_f32 v16, v8, v9                              // 000000004F28: D2680010 00021308
	v_cvt_pk_bf16_f32 v17, v10, v11                            // 000000004F30: D2680011 0002170A
	v_cvt_pk_bf16_f32 v18, v12, v13                            // 000000004F38: D2680012 00021B0C
	v_cvt_pk_bf16_f32 v19, v14, v15                            // 000000004F40: D2680013 00021F0E
	s_nop 1                                                    // 000000004F48: BF800001
	v_permlane16_swap_b32_e32 v16, v18                         // 000000004F4C: 7E20B312
	s_nop 1                                                    // 000000004F50: BF800001
	v_permlane16_swap_b32_e32 v17, v19                         // 000000004F54: 7E22B313
	s_nop 1                                                    // 000000004F58: BF800001
	buffer_store_dwordx4 v[16:19], v162, s[4:7], 0 offen       // 000000004F5C: E07C1000 800110A2
	v_add_u32_e32 v162, s62, v162                              // 000000004F64: 6945443E
	v_accvgpr_read_b32 v8, a32                                 // 000000004F68: D3D84008 18000120
	v_accvgpr_read_b32 v9, a33                                 // 000000004F70: D3D84009 18000121
	v_accvgpr_read_b32 v10, a34                                // 000000004F78: D3D8400A 18000122
	v_accvgpr_read_b32 v11, a35                                // 000000004F80: D3D8400B 18000123
	v_accvgpr_read_b32 v12, a40                                // 000000004F88: D3D8400C 18000128
	v_accvgpr_read_b32 v13, a41                                // 000000004F90: D3D8400D 18000129
	v_accvgpr_read_b32 v14, a42                                // 000000004F98: D3D8400E 1800012A
	v_accvgpr_read_b32 v15, a43                                // 000000004FA0: D3D8400F 1800012B
	v_cvt_pk_bf16_f32 v16, v8, v9                              // 000000004FA8: D2680010 00021308
	v_cvt_pk_bf16_f32 v17, v10, v11                            // 000000004FB0: D2680011 0002170A
	v_cvt_pk_bf16_f32 v18, v12, v13                            // 000000004FB8: D2680012 00021B0C
	v_cvt_pk_bf16_f32 v19, v14, v15                            // 000000004FC0: D2680013 00021F0E
	s_nop 1                                                    // 000000004FC8: BF800001
	v_permlane16_swap_b32_e32 v16, v18                         // 000000004FCC: 7E20B312
	s_nop 1                                                    // 000000004FD0: BF800001
	v_permlane16_swap_b32_e32 v17, v19                         // 000000004FD4: 7E22B313
	s_nop 1                                                    // 000000004FD8: BF800001
	buffer_store_dwordx4 v[16:19], v162, s[4:7], 0 offen       // 000000004FDC: E07C1000 800110A2
	v_add_u32_e32 v162, s62, v162                              // 000000004FE4: 6945443E
	v_accvgpr_read_b32 v8, a36                                 // 000000004FE8: D3D84008 18000124
	v_accvgpr_read_b32 v9, a37                                 // 000000004FF0: D3D84009 18000125
	v_accvgpr_read_b32 v10, a38                                // 000000004FF8: D3D8400A 18000126
	v_accvgpr_read_b32 v11, a39                                // 000000005000: D3D8400B 18000127
	v_accvgpr_read_b32 v12, a44                                // 000000005008: D3D8400C 1800012C
	v_accvgpr_read_b32 v13, a45                                // 000000005010: D3D8400D 1800012D
	v_accvgpr_read_b32 v14, a46                                // 000000005018: D3D8400E 1800012E
	v_accvgpr_read_b32 v15, a47                                // 000000005020: D3D8400F 1800012F
	v_cvt_pk_bf16_f32 v16, v8, v9                              // 000000005028: D2680010 00021308
	v_cvt_pk_bf16_f32 v17, v10, v11                            // 000000005030: D2680011 0002170A
	v_cvt_pk_bf16_f32 v18, v12, v13                            // 000000005038: D2680012 00021B0C
	v_cvt_pk_bf16_f32 v19, v14, v15                            // 000000005040: D2680013 00021F0E
	s_nop 1                                                    // 000000005048: BF800001
	v_permlane16_swap_b32_e32 v16, v18                         // 00000000504C: 7E20B312
	s_nop 1                                                    // 000000005050: BF800001
	v_permlane16_swap_b32_e32 v17, v19                         // 000000005054: 7E22B313
	s_nop 1                                                    // 000000005058: BF800001
	buffer_store_dwordx4 v[16:19], v162, s[4:7], 0 offen       // 00000000505C: E07C1000 800110A2
	v_add_u32_e32 v162, s62, v162                              // 000000005064: 6945443E
	v_add_u32_e32 v162, 64, v158                               // 000000005068: 69453CC0
	v_accvgpr_read_b32 v8, a16                                 // 00000000506C: D3D84008 18000110
	v_accvgpr_read_b32 v9, a17                                 // 000000005074: D3D84009 18000111
	v_accvgpr_read_b32 v10, a18                                // 00000000507C: D3D8400A 18000112
	v_accvgpr_read_b32 v11, a19                                // 000000005084: D3D8400B 18000113
	v_accvgpr_read_b32 v12, a24                                // 00000000508C: D3D8400C 18000118
	v_accvgpr_read_b32 v13, a25                                // 000000005094: D3D8400D 18000119
	v_accvgpr_read_b32 v14, a26                                // 00000000509C: D3D8400E 1800011A
	v_accvgpr_read_b32 v15, a27                                // 0000000050A4: D3D8400F 1800011B
	v_cvt_pk_bf16_f32 v16, v8, v9                              // 0000000050AC: D2680010 00021308
	v_cvt_pk_bf16_f32 v17, v10, v11                            // 0000000050B4: D2680011 0002170A
	v_cvt_pk_bf16_f32 v18, v12, v13                            // 0000000050BC: D2680012 00021B0C
	v_cvt_pk_bf16_f32 v19, v14, v15                            // 0000000050C4: D2680013 00021F0E
	s_nop 1                                                    // 0000000050CC: BF800001
	v_permlane16_swap_b32_e32 v16, v18                         // 0000000050D0: 7E20B312
	s_nop 1                                                    // 0000000050D4: BF800001
	v_permlane16_swap_b32_e32 v17, v19                         // 0000000050D8: 7E22B313
	s_nop 1                                                    // 0000000050DC: BF800001
	buffer_store_dwordx4 v[16:19], v162, s[4:7], 0 offen       // 0000000050E0: E07C1000 800110A2
	v_add_u32_e32 v162, s62, v162                              // 0000000050E8: 6945443E
	v_accvgpr_read_b32 v8, a20                                 // 0000000050EC: D3D84008 18000114
	v_accvgpr_read_b32 v9, a21                                 // 0000000050F4: D3D84009 18000115
	v_accvgpr_read_b32 v10, a22                                // 0000000050FC: D3D8400A 18000116
	v_accvgpr_read_b32 v11, a23                                // 000000005104: D3D8400B 18000117
	v_accvgpr_read_b32 v12, a28                                // 00000000510C: D3D8400C 1800011C
	v_accvgpr_read_b32 v13, a29                                // 000000005114: D3D8400D 1800011D
	v_accvgpr_read_b32 v14, a30                                // 00000000511C: D3D8400E 1800011E
	v_accvgpr_read_b32 v15, a31                                // 000000005124: D3D8400F 1800011F
	v_cvt_pk_bf16_f32 v16, v8, v9                              // 00000000512C: D2680010 00021308
	v_cvt_pk_bf16_f32 v17, v10, v11                            // 000000005134: D2680011 0002170A
	v_cvt_pk_bf16_f32 v18, v12, v13                            // 00000000513C: D2680012 00021B0C
	v_cvt_pk_bf16_f32 v19, v14, v15                            // 000000005144: D2680013 00021F0E
	s_nop 1                                                    // 00000000514C: BF800001
	v_permlane16_swap_b32_e32 v16, v18                         // 000000005150: 7E20B312
	s_nop 1                                                    // 000000005154: BF800001
	v_permlane16_swap_b32_e32 v17, v19                         // 000000005158: 7E22B313
	s_nop 1                                                    // 00000000515C: BF800001
	buffer_store_dwordx4 v[16:19], v162, s[4:7], 0 offen       // 000000005160: E07C1000 800110A2
	v_add_u32_e32 v162, s62, v162                              // 000000005168: 6945443E
	v_accvgpr_read_b32 v8, a48                                 // 00000000516C: D3D84008 18000130
	v_accvgpr_read_b32 v9, a49                                 // 000000005174: D3D84009 18000131
	v_accvgpr_read_b32 v10, a50                                // 00000000517C: D3D8400A 18000132
	v_accvgpr_read_b32 v11, a51                                // 000000005184: D3D8400B 18000133
	v_accvgpr_read_b32 v12, a56                                // 00000000518C: D3D8400C 18000138
	v_accvgpr_read_b32 v13, a57                                // 000000005194: D3D8400D 18000139
	v_accvgpr_read_b32 v14, a58                                // 00000000519C: D3D8400E 1800013A
	v_accvgpr_read_b32 v15, a59                                // 0000000051A4: D3D8400F 1800013B
	v_cvt_pk_bf16_f32 v16, v8, v9                              // 0000000051AC: D2680010 00021308
	v_cvt_pk_bf16_f32 v17, v10, v11                            // 0000000051B4: D2680011 0002170A
	v_cvt_pk_bf16_f32 v18, v12, v13                            // 0000000051BC: D2680012 00021B0C
	v_cvt_pk_bf16_f32 v19, v14, v15                            // 0000000051C4: D2680013 00021F0E
	s_nop 1                                                    // 0000000051CC: BF800001
	v_permlane16_swap_b32_e32 v16, v18                         // 0000000051D0: 7E20B312
	s_nop 1                                                    // 0000000051D4: BF800001
	v_permlane16_swap_b32_e32 v17, v19                         // 0000000051D8: 7E22B313
	s_nop 1                                                    // 0000000051DC: BF800001
	buffer_store_dwordx4 v[16:19], v162, s[4:7], 0 offen       // 0000000051E0: E07C1000 800110A2
	v_add_u32_e32 v162, s62, v162                              // 0000000051E8: 6945443E
	v_accvgpr_read_b32 v8, a52                                 // 0000000051EC: D3D84008 18000134
	v_accvgpr_read_b32 v9, a53                                 // 0000000051F4: D3D84009 18000135
	v_accvgpr_read_b32 v10, a54                                // 0000000051FC: D3D8400A 18000136
	v_accvgpr_read_b32 v11, a55                                // 000000005204: D3D8400B 18000137
	v_accvgpr_read_b32 v12, a60                                // 00000000520C: D3D8400C 1800013C
	v_accvgpr_read_b32 v13, a61                                // 000000005214: D3D8400D 1800013D
	v_accvgpr_read_b32 v14, a62                                // 00000000521C: D3D8400E 1800013E
	v_accvgpr_read_b32 v15, a63                                // 000000005224: D3D8400F 1800013F
	v_cvt_pk_bf16_f32 v16, v8, v9                              // 00000000522C: D2680010 00021308
	v_cvt_pk_bf16_f32 v17, v10, v11                            // 000000005234: D2680011 0002170A
	v_cvt_pk_bf16_f32 v18, v12, v13                            // 00000000523C: D2680012 00021B0C
	v_cvt_pk_bf16_f32 v19, v14, v15                            // 000000005244: D2680013 00021F0E
	s_nop 1                                                    // 00000000524C: BF800001
	v_permlane16_swap_b32_e32 v16, v18                         // 000000005250: 7E20B312
	s_nop 1                                                    // 000000005254: BF800001
	v_permlane16_swap_b32_e32 v17, v19                         // 000000005258: 7E22B313
	s_nop 1                                                    // 00000000525C: BF800001
	buffer_store_dwordx4 v[16:19], v162, s[4:7], 0 offen       // 000000005260: E07C1000 800110A2
	v_add_u32_e32 v162, s62, v162                              // 000000005268: 6945443E
	s_branch label_0AA5                                        // 00000000526C: BF820109

0000000000005270 <label_099C>:
	s_mul_i32 s62, s36, 16                                     // 000000005270: 923E9024
	s_cmp_lt_i32 s60, s44                                      // 000000005274: BF042C3C
	s_cbranch_scc0 label_0AA5                                  // 000000005278: BF840106
	s_addk_i32 s60, 0x20                                       // 00000000527C: B73C0020
	v_add_u32_e32 v162, 0, v158                                // 000000005280: 69453C80
	v_accvgpr_read_b32 v8, a0                                  // 000000005284: D3D84008 18000100
	v_accvgpr_read_b32 v9, a1                                  // 00000000528C: D3D84009 18000101
	v_accvgpr_read_b32 v10, a2                                 // 000000005294: D3D8400A 18000102
	v_accvgpr_read_b32 v11, a3                                 // 00000000529C: D3D8400B 18000103
	v_accvgpr_read_b32 v12, a8                                 // 0000000052A4: D3D8400C 18000108
	v_accvgpr_read_b32 v13, a9                                 // 0000000052AC: D3D8400D 18000109
	v_accvgpr_read_b32 v14, a10                                // 0000000052B4: D3D8400E 1800010A
	v_accvgpr_read_b32 v15, a11                                // 0000000052BC: D3D8400F 1800010B
	v_cvt_pk_bf16_f32 v16, v8, v9                              // 0000000052C4: D2680010 00021308
	v_cvt_pk_bf16_f32 v17, v10, v11                            // 0000000052CC: D2680011 0002170A
	v_cvt_pk_bf16_f32 v18, v12, v13                            // 0000000052D4: D2680012 00021B0C
	v_cvt_pk_bf16_f32 v19, v14, v15                            // 0000000052DC: D2680013 00021F0E
	s_nop 1                                                    // 0000000052E4: BF800001
	v_permlane16_swap_b32_e32 v16, v18                         // 0000000052E8: 7E20B312
	s_nop 1                                                    // 0000000052EC: BF800001
	v_permlane16_swap_b32_e32 v17, v19                         // 0000000052F0: 7E22B313
	s_nop 1                                                    // 0000000052F4: BF800001
	buffer_store_dwordx4 v[16:19], v162, s[4:7], 0 offen       // 0000000052F8: E07C1000 800110A2
	v_add_u32_e32 v162, s62, v162                              // 000000005300: 6945443E
	v_accvgpr_read_b32 v8, a4                                  // 000000005304: D3D84008 18000104
	v_accvgpr_read_b32 v9, a5                                  // 00000000530C: D3D84009 18000105
	v_accvgpr_read_b32 v10, a6                                 // 000000005314: D3D8400A 18000106
	v_accvgpr_read_b32 v11, a7                                 // 00000000531C: D3D8400B 18000107
	v_accvgpr_read_b32 v12, a12                                // 000000005324: D3D8400C 1800010C
	v_accvgpr_read_b32 v13, a13                                // 00000000532C: D3D8400D 1800010D
	v_accvgpr_read_b32 v14, a14                                // 000000005334: D3D8400E 1800010E
	v_accvgpr_read_b32 v15, a15                                // 00000000533C: D3D8400F 1800010F
	v_cvt_pk_bf16_f32 v16, v8, v9                              // 000000005344: D2680010 00021308
	v_cvt_pk_bf16_f32 v17, v10, v11                            // 00000000534C: D2680011 0002170A
	v_cvt_pk_bf16_f32 v18, v12, v13                            // 000000005354: D2680012 00021B0C
	v_cvt_pk_bf16_f32 v19, v14, v15                            // 00000000535C: D2680013 00021F0E
	s_nop 1                                                    // 000000005364: BF800001
	v_permlane16_swap_b32_e32 v16, v18                         // 000000005368: 7E20B312
	s_nop 1                                                    // 00000000536C: BF800001
	v_permlane16_swap_b32_e32 v17, v19                         // 000000005370: 7E22B313
	s_nop 1                                                    // 000000005374: BF800001
	buffer_store_dwordx4 v[16:19], v162, s[4:7], 0 offen       // 000000005378: E07C1000 800110A2
	v_add_u32_e32 v162, s62, v162                              // 000000005380: 6945443E
	v_accvgpr_read_b32 v8, a32                                 // 000000005384: D3D84008 18000120
	v_accvgpr_read_b32 v9, a33                                 // 00000000538C: D3D84009 18000121
	v_accvgpr_read_b32 v10, a34                                // 000000005394: D3D8400A 18000122
	v_accvgpr_read_b32 v11, a35                                // 00000000539C: D3D8400B 18000123
	v_accvgpr_read_b32 v12, a40                                // 0000000053A4: D3D8400C 18000128
	v_accvgpr_read_b32 v13, a41                                // 0000000053AC: D3D8400D 18000129
	v_accvgpr_read_b32 v14, a42                                // 0000000053B4: D3D8400E 1800012A
	v_accvgpr_read_b32 v15, a43                                // 0000000053BC: D3D8400F 1800012B
	v_cvt_pk_bf16_f32 v16, v8, v9                              // 0000000053C4: D2680010 00021308
	v_cvt_pk_bf16_f32 v17, v10, v11                            // 0000000053CC: D2680011 0002170A
	v_cvt_pk_bf16_f32 v18, v12, v13                            // 0000000053D4: D2680012 00021B0C
	v_cvt_pk_bf16_f32 v19, v14, v15                            // 0000000053DC: D2680013 00021F0E
	s_nop 1                                                    // 0000000053E4: BF800001
	v_permlane16_swap_b32_e32 v16, v18                         // 0000000053E8: 7E20B312
	s_nop 1                                                    // 0000000053EC: BF800001
	v_permlane16_swap_b32_e32 v17, v19                         // 0000000053F0: 7E22B313
	s_nop 1                                                    // 0000000053F4: BF800001
	buffer_store_dwordx4 v[16:19], v162, s[4:7], 0 offen       // 0000000053F8: E07C1000 800110A2
	v_add_u32_e32 v162, s62, v162                              // 000000005400: 6945443E
	v_accvgpr_read_b32 v8, a36                                 // 000000005404: D3D84008 18000124
	v_accvgpr_read_b32 v9, a37                                 // 00000000540C: D3D84009 18000125
	v_accvgpr_read_b32 v10, a38                                // 000000005414: D3D8400A 18000126
	v_accvgpr_read_b32 v11, a39                                // 00000000541C: D3D8400B 18000127
	v_accvgpr_read_b32 v12, a44                                // 000000005424: D3D8400C 1800012C
	v_accvgpr_read_b32 v13, a45                                // 00000000542C: D3D8400D 1800012D
	v_accvgpr_read_b32 v14, a46                                // 000000005434: D3D8400E 1800012E
	v_accvgpr_read_b32 v15, a47                                // 00000000543C: D3D8400F 1800012F
	v_cvt_pk_bf16_f32 v16, v8, v9                              // 000000005444: D2680010 00021308
	v_cvt_pk_bf16_f32 v17, v10, v11                            // 00000000544C: D2680011 0002170A
	v_cvt_pk_bf16_f32 v18, v12, v13                            // 000000005454: D2680012 00021B0C
	v_cvt_pk_bf16_f32 v19, v14, v15                            // 00000000545C: D2680013 00021F0E
	s_nop 1                                                    // 000000005464: BF800001
	v_permlane16_swap_b32_e32 v16, v18                         // 000000005468: 7E20B312
	s_nop 1                                                    // 00000000546C: BF800001
	v_permlane16_swap_b32_e32 v17, v19                         // 000000005470: 7E22B313
	s_nop 1                                                    // 000000005474: BF800001
	buffer_store_dwordx4 v[16:19], v162, s[4:7], 0 offen       // 000000005478: E07C1000 800110A2
	v_add_u32_e32 v162, s62, v162                              // 000000005480: 6945443E
	s_cmp_lt_i32 s60, s44                                      // 000000005484: BF042C3C
	s_cbranch_scc0 label_0AA5                                  // 000000005488: BF840082
	s_addk_i32 s60, 0x20                                       // 00000000548C: B73C0020
	v_add_u32_e32 v162, 64, v158                               // 000000005490: 69453CC0
	v_accvgpr_read_b32 v8, a16                                 // 000000005494: D3D84008 18000110
	v_accvgpr_read_b32 v9, a17                                 // 00000000549C: D3D84009 18000111
	v_accvgpr_read_b32 v10, a18                                // 0000000054A4: D3D8400A 18000112
	v_accvgpr_read_b32 v11, a19                                // 0000000054AC: D3D8400B 18000113
	v_accvgpr_read_b32 v12, a24                                // 0000000054B4: D3D8400C 18000118
	v_accvgpr_read_b32 v13, a25                                // 0000000054BC: D3D8400D 18000119
	v_accvgpr_read_b32 v14, a26                                // 0000000054C4: D3D8400E 1800011A
	v_accvgpr_read_b32 v15, a27                                // 0000000054CC: D3D8400F 1800011B
	v_cvt_pk_bf16_f32 v16, v8, v9                              // 0000000054D4: D2680010 00021308
	v_cvt_pk_bf16_f32 v17, v10, v11                            // 0000000054DC: D2680011 0002170A
	v_cvt_pk_bf16_f32 v18, v12, v13                            // 0000000054E4: D2680012 00021B0C
	v_cvt_pk_bf16_f32 v19, v14, v15                            // 0000000054EC: D2680013 00021F0E
	s_nop 1                                                    // 0000000054F4: BF800001
	v_permlane16_swap_b32_e32 v16, v18                         // 0000000054F8: 7E20B312
	s_nop 1                                                    // 0000000054FC: BF800001
	v_permlane16_swap_b32_e32 v17, v19                         // 000000005500: 7E22B313
	s_nop 1                                                    // 000000005504: BF800001
	buffer_store_dwordx4 v[16:19], v162, s[4:7], 0 offen       // 000000005508: E07C1000 800110A2
	v_add_u32_e32 v162, s62, v162                              // 000000005510: 6945443E
	v_accvgpr_read_b32 v8, a20                                 // 000000005514: D3D84008 18000114
	v_accvgpr_read_b32 v9, a21                                 // 00000000551C: D3D84009 18000115
	v_accvgpr_read_b32 v10, a22                                // 000000005524: D3D8400A 18000116
	v_accvgpr_read_b32 v11, a23                                // 00000000552C: D3D8400B 18000117
	v_accvgpr_read_b32 v12, a28                                // 000000005534: D3D8400C 1800011C
	v_accvgpr_read_b32 v13, a29                                // 00000000553C: D3D8400D 1800011D
	v_accvgpr_read_b32 v14, a30                                // 000000005544: D3D8400E 1800011E
	v_accvgpr_read_b32 v15, a31                                // 00000000554C: D3D8400F 1800011F
	v_cvt_pk_bf16_f32 v16, v8, v9                              // 000000005554: D2680010 00021308
	v_cvt_pk_bf16_f32 v17, v10, v11                            // 00000000555C: D2680011 0002170A
	v_cvt_pk_bf16_f32 v18, v12, v13                            // 000000005564: D2680012 00021B0C
	v_cvt_pk_bf16_f32 v19, v14, v15                            // 00000000556C: D2680013 00021F0E
	s_nop 1                                                    // 000000005574: BF800001
	v_permlane16_swap_b32_e32 v16, v18                         // 000000005578: 7E20B312
	s_nop 1                                                    // 00000000557C: BF800001
	v_permlane16_swap_b32_e32 v17, v19                         // 000000005580: 7E22B313
	s_nop 1                                                    // 000000005584: BF800001
	buffer_store_dwordx4 v[16:19], v162, s[4:7], 0 offen       // 000000005588: E07C1000 800110A2
	v_add_u32_e32 v162, s62, v162                              // 000000005590: 6945443E
	v_accvgpr_read_b32 v8, a48                                 // 000000005594: D3D84008 18000130
	v_accvgpr_read_b32 v9, a49                                 // 00000000559C: D3D84009 18000131
	v_accvgpr_read_b32 v10, a50                                // 0000000055A4: D3D8400A 18000132
	v_accvgpr_read_b32 v11, a51                                // 0000000055AC: D3D8400B 18000133
	v_accvgpr_read_b32 v12, a56                                // 0000000055B4: D3D8400C 18000138
	v_accvgpr_read_b32 v13, a57                                // 0000000055BC: D3D8400D 18000139
	v_accvgpr_read_b32 v14, a58                                // 0000000055C4: D3D8400E 1800013A
	v_accvgpr_read_b32 v15, a59                                // 0000000055CC: D3D8400F 1800013B
	v_cvt_pk_bf16_f32 v16, v8, v9                              // 0000000055D4: D2680010 00021308
	v_cvt_pk_bf16_f32 v17, v10, v11                            // 0000000055DC: D2680011 0002170A
	v_cvt_pk_bf16_f32 v18, v12, v13                            // 0000000055E4: D2680012 00021B0C
	v_cvt_pk_bf16_f32 v19, v14, v15                            // 0000000055EC: D2680013 00021F0E
	s_nop 1                                                    // 0000000055F4: BF800001
	v_permlane16_swap_b32_e32 v16, v18                         // 0000000055F8: 7E20B312
	s_nop 1                                                    // 0000000055FC: BF800001
	v_permlane16_swap_b32_e32 v17, v19                         // 000000005600: 7E22B313
	s_nop 1                                                    // 000000005604: BF800001
	buffer_store_dwordx4 v[16:19], v162, s[4:7], 0 offen       // 000000005608: E07C1000 800110A2
	v_add_u32_e32 v162, s62, v162                              // 000000005610: 6945443E
	v_accvgpr_read_b32 v8, a52                                 // 000000005614: D3D84008 18000134
	v_accvgpr_read_b32 v9, a53                                 // 00000000561C: D3D84009 18000135
	v_accvgpr_read_b32 v10, a54                                // 000000005624: D3D8400A 18000136
	v_accvgpr_read_b32 v11, a55                                // 00000000562C: D3D8400B 18000137
	v_accvgpr_read_b32 v12, a60                                // 000000005634: D3D8400C 1800013C
	v_accvgpr_read_b32 v13, a61                                // 00000000563C: D3D8400D 1800013D
	v_accvgpr_read_b32 v14, a62                                // 000000005644: D3D8400E 1800013E
	v_accvgpr_read_b32 v15, a63                                // 00000000564C: D3D8400F 1800013F
	v_cvt_pk_bf16_f32 v16, v8, v9                              // 000000005654: D2680010 00021308
	v_cvt_pk_bf16_f32 v17, v10, v11                            // 00000000565C: D2680011 0002170A
	v_cvt_pk_bf16_f32 v18, v12, v13                            // 000000005664: D2680012 00021B0C
	v_cvt_pk_bf16_f32 v19, v14, v15                            // 00000000566C: D2680013 00021F0E
	s_nop 1                                                    // 000000005674: BF800001
	v_permlane16_swap_b32_e32 v16, v18                         // 000000005678: 7E20B312
	s_nop 1                                                    // 00000000567C: BF800001
	v_permlane16_swap_b32_e32 v17, v19                         // 000000005680: 7E22B313
	s_nop 1                                                    // 000000005684: BF800001
	buffer_store_dwordx4 v[16:19], v162, s[4:7], 0 offen       // 000000005688: E07C1000 800110A2
	v_add_u32_e32 v162, s62, v162                              // 000000005690: 6945443E

0000000000005694 <label_0AA5>:
	s_waitcnt vmcnt(0) expcnt(0) lgkmcnt(0)                    // 000000005694: BF8C0000
	s_endpgm                                                   // 000000005698: BF810000
